;; amdgpu-corpus repo=ROCm/rocFFT kind=compiled arch=gfx1100 opt=O3
	.text
	.amdgcn_target "amdgcn-amd-amdhsa--gfx1100"
	.amdhsa_code_object_version 6
	.protected	fft_rtc_fwd_len3072_factors_6_4_4_4_4_2_wgs_256_tpt_256_halfLds_dp_ip_CI_sbrr_dirReg ; -- Begin function fft_rtc_fwd_len3072_factors_6_4_4_4_4_2_wgs_256_tpt_256_halfLds_dp_ip_CI_sbrr_dirReg
	.globl	fft_rtc_fwd_len3072_factors_6_4_4_4_4_2_wgs_256_tpt_256_halfLds_dp_ip_CI_sbrr_dirReg
	.p2align	8
	.type	fft_rtc_fwd_len3072_factors_6_4_4_4_4_2_wgs_256_tpt_256_halfLds_dp_ip_CI_sbrr_dirReg,@function
fft_rtc_fwd_len3072_factors_6_4_4_4_4_2_wgs_256_tpt_256_halfLds_dp_ip_CI_sbrr_dirReg: ; @fft_rtc_fwd_len3072_factors_6_4_4_4_4_2_wgs_256_tpt_256_halfLds_dp_ip_CI_sbrr_dirReg
; %bb.0:
	s_clause 0x2
	s_load_b64 s[12:13], s[0:1], 0x18
	s_load_b128 s[4:7], s[0:1], 0x0
	s_load_b64 s[10:11], s[0:1], 0x50
	v_mov_b32_e32 v1, 0
	v_mov_b32_e32 v3, 0
	v_dual_mov_b32 v4, 0 :: v_dual_mov_b32 v5, s15
	s_delay_alu instid0(VALU_DEP_3) | instskip(SKIP_3) | instid1(VALU_DEP_1)
	v_mov_b32_e32 v6, v1
	s_waitcnt lgkmcnt(0)
	s_load_b64 s[8:9], s[12:13], 0x0
	v_cmp_lt_u64_e64 s2, s[6:7], 2
	s_and_b32 vcc_lo, exec_lo, s2
	s_cbranch_vccnz .LBB0_8
; %bb.1:
	s_load_b64 s[2:3], s[0:1], 0x10
	v_mov_b32_e32 v3, 0
	s_add_u32 s14, s12, 8
	v_mov_b32_e32 v4, 0
	s_addc_u32 s15, s13, 0
	s_mov_b64 s[18:19], 1
	s_waitcnt lgkmcnt(0)
	s_add_u32 s16, s2, 8
	s_addc_u32 s17, s3, 0
.LBB0_2:                                ; =>This Inner Loop Header: Depth=1
	s_load_b64 s[20:21], s[16:17], 0x0
                                        ; implicit-def: $vgpr7_vgpr8
	s_mov_b32 s2, exec_lo
	s_waitcnt lgkmcnt(0)
	v_or_b32_e32 v2, s21, v6
	s_delay_alu instid0(VALU_DEP_1)
	v_cmpx_ne_u64_e32 0, v[1:2]
	s_xor_b32 s3, exec_lo, s2
	s_cbranch_execz .LBB0_4
; %bb.3:                                ;   in Loop: Header=BB0_2 Depth=1
	v_cvt_f32_u32_e32 v2, s20
	v_cvt_f32_u32_e32 v7, s21
	s_sub_u32 s2, 0, s20
	s_subb_u32 s22, 0, s21
	s_delay_alu instid0(VALU_DEP_1) | instskip(NEXT) | instid1(VALU_DEP_1)
	v_fmac_f32_e32 v2, 0x4f800000, v7
	v_rcp_f32_e32 v2, v2
	s_waitcnt_depctr 0xfff
	v_mul_f32_e32 v2, 0x5f7ffffc, v2
	s_delay_alu instid0(VALU_DEP_1) | instskip(NEXT) | instid1(VALU_DEP_1)
	v_mul_f32_e32 v7, 0x2f800000, v2
	v_trunc_f32_e32 v7, v7
	s_delay_alu instid0(VALU_DEP_1) | instskip(SKIP_1) | instid1(VALU_DEP_2)
	v_fmac_f32_e32 v2, 0xcf800000, v7
	v_cvt_u32_f32_e32 v7, v7
	v_cvt_u32_f32_e32 v2, v2
	s_delay_alu instid0(VALU_DEP_2) | instskip(NEXT) | instid1(VALU_DEP_2)
	v_mul_lo_u32 v8, s2, v7
	v_mul_hi_u32 v9, s2, v2
	v_mul_lo_u32 v10, s22, v2
	s_delay_alu instid0(VALU_DEP_2) | instskip(SKIP_1) | instid1(VALU_DEP_2)
	v_add_nc_u32_e32 v8, v9, v8
	v_mul_lo_u32 v9, s2, v2
	v_add_nc_u32_e32 v8, v8, v10
	s_delay_alu instid0(VALU_DEP_2) | instskip(NEXT) | instid1(VALU_DEP_2)
	v_mul_hi_u32 v10, v2, v9
	v_mul_lo_u32 v11, v2, v8
	v_mul_hi_u32 v12, v2, v8
	v_mul_hi_u32 v13, v7, v9
	v_mul_lo_u32 v9, v7, v9
	v_mul_hi_u32 v14, v7, v8
	v_mul_lo_u32 v8, v7, v8
	v_add_co_u32 v10, vcc_lo, v10, v11
	v_add_co_ci_u32_e32 v11, vcc_lo, 0, v12, vcc_lo
	s_delay_alu instid0(VALU_DEP_2) | instskip(NEXT) | instid1(VALU_DEP_2)
	v_add_co_u32 v9, vcc_lo, v10, v9
	v_add_co_ci_u32_e32 v9, vcc_lo, v11, v13, vcc_lo
	v_add_co_ci_u32_e32 v10, vcc_lo, 0, v14, vcc_lo
	s_delay_alu instid0(VALU_DEP_2) | instskip(NEXT) | instid1(VALU_DEP_2)
	v_add_co_u32 v8, vcc_lo, v9, v8
	v_add_co_ci_u32_e32 v9, vcc_lo, 0, v10, vcc_lo
	s_delay_alu instid0(VALU_DEP_2) | instskip(NEXT) | instid1(VALU_DEP_2)
	v_add_co_u32 v2, vcc_lo, v2, v8
	v_add_co_ci_u32_e32 v7, vcc_lo, v7, v9, vcc_lo
	s_delay_alu instid0(VALU_DEP_2) | instskip(SKIP_1) | instid1(VALU_DEP_3)
	v_mul_hi_u32 v8, s2, v2
	v_mul_lo_u32 v10, s22, v2
	v_mul_lo_u32 v9, s2, v7
	s_delay_alu instid0(VALU_DEP_1) | instskip(SKIP_1) | instid1(VALU_DEP_2)
	v_add_nc_u32_e32 v8, v8, v9
	v_mul_lo_u32 v9, s2, v2
	v_add_nc_u32_e32 v8, v8, v10
	s_delay_alu instid0(VALU_DEP_2) | instskip(NEXT) | instid1(VALU_DEP_2)
	v_mul_hi_u32 v10, v2, v9
	v_mul_lo_u32 v11, v2, v8
	v_mul_hi_u32 v12, v2, v8
	v_mul_hi_u32 v13, v7, v9
	v_mul_lo_u32 v9, v7, v9
	v_mul_hi_u32 v14, v7, v8
	v_mul_lo_u32 v8, v7, v8
	v_add_co_u32 v10, vcc_lo, v10, v11
	v_add_co_ci_u32_e32 v11, vcc_lo, 0, v12, vcc_lo
	s_delay_alu instid0(VALU_DEP_2) | instskip(NEXT) | instid1(VALU_DEP_2)
	v_add_co_u32 v9, vcc_lo, v10, v9
	v_add_co_ci_u32_e32 v9, vcc_lo, v11, v13, vcc_lo
	v_add_co_ci_u32_e32 v10, vcc_lo, 0, v14, vcc_lo
	s_delay_alu instid0(VALU_DEP_2) | instskip(NEXT) | instid1(VALU_DEP_2)
	v_add_co_u32 v8, vcc_lo, v9, v8
	v_add_co_ci_u32_e32 v9, vcc_lo, 0, v10, vcc_lo
	s_delay_alu instid0(VALU_DEP_2) | instskip(NEXT) | instid1(VALU_DEP_2)
	v_add_co_u32 v2, vcc_lo, v2, v8
	v_add_co_ci_u32_e32 v13, vcc_lo, v7, v9, vcc_lo
	s_delay_alu instid0(VALU_DEP_2) | instskip(SKIP_1) | instid1(VALU_DEP_3)
	v_mul_hi_u32 v14, v5, v2
	v_mad_u64_u32 v[9:10], null, v6, v2, 0
	v_mad_u64_u32 v[7:8], null, v5, v13, 0
	;; [unrolled: 1-line block ×3, first 2 shown]
	s_delay_alu instid0(VALU_DEP_2) | instskip(NEXT) | instid1(VALU_DEP_3)
	v_add_co_u32 v2, vcc_lo, v14, v7
	v_add_co_ci_u32_e32 v7, vcc_lo, 0, v8, vcc_lo
	s_delay_alu instid0(VALU_DEP_2) | instskip(NEXT) | instid1(VALU_DEP_2)
	v_add_co_u32 v2, vcc_lo, v2, v9
	v_add_co_ci_u32_e32 v2, vcc_lo, v7, v10, vcc_lo
	v_add_co_ci_u32_e32 v7, vcc_lo, 0, v12, vcc_lo
	s_delay_alu instid0(VALU_DEP_2) | instskip(NEXT) | instid1(VALU_DEP_2)
	v_add_co_u32 v2, vcc_lo, v2, v11
	v_add_co_ci_u32_e32 v9, vcc_lo, 0, v7, vcc_lo
	s_delay_alu instid0(VALU_DEP_2) | instskip(SKIP_1) | instid1(VALU_DEP_3)
	v_mul_lo_u32 v10, s21, v2
	v_mad_u64_u32 v[7:8], null, s20, v2, 0
	v_mul_lo_u32 v11, s20, v9
	s_delay_alu instid0(VALU_DEP_2) | instskip(NEXT) | instid1(VALU_DEP_2)
	v_sub_co_u32 v7, vcc_lo, v5, v7
	v_add3_u32 v8, v8, v11, v10
	s_delay_alu instid0(VALU_DEP_1) | instskip(NEXT) | instid1(VALU_DEP_1)
	v_sub_nc_u32_e32 v10, v6, v8
	v_subrev_co_ci_u32_e64 v10, s2, s21, v10, vcc_lo
	v_add_co_u32 v11, s2, v2, 2
	s_delay_alu instid0(VALU_DEP_1) | instskip(SKIP_3) | instid1(VALU_DEP_3)
	v_add_co_ci_u32_e64 v12, s2, 0, v9, s2
	v_sub_co_u32 v13, s2, v7, s20
	v_sub_co_ci_u32_e32 v8, vcc_lo, v6, v8, vcc_lo
	v_subrev_co_ci_u32_e64 v10, s2, 0, v10, s2
	v_cmp_le_u32_e32 vcc_lo, s20, v13
	s_delay_alu instid0(VALU_DEP_3) | instskip(SKIP_1) | instid1(VALU_DEP_4)
	v_cmp_eq_u32_e64 s2, s21, v8
	v_cndmask_b32_e64 v13, 0, -1, vcc_lo
	v_cmp_le_u32_e32 vcc_lo, s21, v10
	v_cndmask_b32_e64 v14, 0, -1, vcc_lo
	v_cmp_le_u32_e32 vcc_lo, s20, v7
	;; [unrolled: 2-line block ×3, first 2 shown]
	v_cndmask_b32_e64 v15, 0, -1, vcc_lo
	v_cmp_eq_u32_e32 vcc_lo, s21, v10
	s_delay_alu instid0(VALU_DEP_2) | instskip(SKIP_3) | instid1(VALU_DEP_3)
	v_cndmask_b32_e64 v7, v15, v7, s2
	v_cndmask_b32_e32 v10, v14, v13, vcc_lo
	v_add_co_u32 v13, vcc_lo, v2, 1
	v_add_co_ci_u32_e32 v14, vcc_lo, 0, v9, vcc_lo
	v_cmp_ne_u32_e32 vcc_lo, 0, v10
	s_delay_alu instid0(VALU_DEP_2) | instskip(NEXT) | instid1(VALU_DEP_4)
	v_cndmask_b32_e32 v8, v14, v12, vcc_lo
	v_cndmask_b32_e32 v10, v13, v11, vcc_lo
	v_cmp_ne_u32_e32 vcc_lo, 0, v7
	s_delay_alu instid0(VALU_DEP_2)
	v_dual_cndmask_b32 v7, v2, v10 :: v_dual_cndmask_b32 v8, v9, v8
.LBB0_4:                                ;   in Loop: Header=BB0_2 Depth=1
	s_and_not1_saveexec_b32 s2, s3
	s_cbranch_execz .LBB0_6
; %bb.5:                                ;   in Loop: Header=BB0_2 Depth=1
	v_cvt_f32_u32_e32 v2, s20
	s_sub_i32 s3, 0, s20
	s_delay_alu instid0(VALU_DEP_1) | instskip(SKIP_2) | instid1(VALU_DEP_1)
	v_rcp_iflag_f32_e32 v2, v2
	s_waitcnt_depctr 0xfff
	v_mul_f32_e32 v2, 0x4f7ffffe, v2
	v_cvt_u32_f32_e32 v2, v2
	s_delay_alu instid0(VALU_DEP_1) | instskip(NEXT) | instid1(VALU_DEP_1)
	v_mul_lo_u32 v7, s3, v2
	v_mul_hi_u32 v7, v2, v7
	s_delay_alu instid0(VALU_DEP_1) | instskip(NEXT) | instid1(VALU_DEP_1)
	v_add_nc_u32_e32 v2, v2, v7
	v_mul_hi_u32 v2, v5, v2
	s_delay_alu instid0(VALU_DEP_1) | instskip(SKIP_1) | instid1(VALU_DEP_2)
	v_mul_lo_u32 v7, v2, s20
	v_add_nc_u32_e32 v8, 1, v2
	v_sub_nc_u32_e32 v7, v5, v7
	s_delay_alu instid0(VALU_DEP_1) | instskip(SKIP_1) | instid1(VALU_DEP_2)
	v_subrev_nc_u32_e32 v9, s20, v7
	v_cmp_le_u32_e32 vcc_lo, s20, v7
	v_dual_cndmask_b32 v7, v7, v9 :: v_dual_cndmask_b32 v2, v2, v8
	s_delay_alu instid0(VALU_DEP_1) | instskip(NEXT) | instid1(VALU_DEP_2)
	v_cmp_le_u32_e32 vcc_lo, s20, v7
	v_add_nc_u32_e32 v8, 1, v2
	s_delay_alu instid0(VALU_DEP_1)
	v_dual_cndmask_b32 v7, v2, v8 :: v_dual_mov_b32 v8, v1
.LBB0_6:                                ;   in Loop: Header=BB0_2 Depth=1
	s_or_b32 exec_lo, exec_lo, s2
	s_load_b64 s[2:3], s[14:15], 0x0
	s_delay_alu instid0(VALU_DEP_1) | instskip(NEXT) | instid1(VALU_DEP_2)
	v_mul_lo_u32 v2, v8, s20
	v_mul_lo_u32 v11, v7, s21
	v_mad_u64_u32 v[9:10], null, v7, s20, 0
	s_add_u32 s18, s18, 1
	s_addc_u32 s19, s19, 0
	s_add_u32 s14, s14, 8
	s_addc_u32 s15, s15, 0
	;; [unrolled: 2-line block ×3, first 2 shown]
	s_delay_alu instid0(VALU_DEP_1) | instskip(SKIP_1) | instid1(VALU_DEP_2)
	v_add3_u32 v2, v10, v11, v2
	v_sub_co_u32 v9, vcc_lo, v5, v9
	v_sub_co_ci_u32_e32 v2, vcc_lo, v6, v2, vcc_lo
	s_waitcnt lgkmcnt(0)
	s_delay_alu instid0(VALU_DEP_2) | instskip(NEXT) | instid1(VALU_DEP_2)
	v_mul_lo_u32 v10, s3, v9
	v_mul_lo_u32 v2, s2, v2
	v_mad_u64_u32 v[5:6], null, s2, v9, v[3:4]
	v_cmp_ge_u64_e64 s2, s[18:19], s[6:7]
	s_delay_alu instid0(VALU_DEP_1) | instskip(NEXT) | instid1(VALU_DEP_2)
	s_and_b32 vcc_lo, exec_lo, s2
	v_add3_u32 v4, v10, v6, v2
	s_delay_alu instid0(VALU_DEP_3)
	v_mov_b32_e32 v3, v5
	s_cbranch_vccnz .LBB0_9
; %bb.7:                                ;   in Loop: Header=BB0_2 Depth=1
	v_dual_mov_b32 v5, v7 :: v_dual_mov_b32 v6, v8
	s_branch .LBB0_2
.LBB0_8:
	v_dual_mov_b32 v8, v6 :: v_dual_mov_b32 v7, v5
.LBB0_9:
	s_lshl_b64 s[2:3], s[6:7], 3
	v_or_b32_e32 v64, 0x100, v0
	s_add_u32 s2, s12, s2
	s_addc_u32 s3, s13, s3
	v_or_b32_e32 v61, 0x300, v0
	s_load_b64 s[2:3], s[2:3], 0x0
	s_load_b64 s[0:1], s[0:1], 0x20
	v_or_b32_e32 v63, 0x200, v0
	v_or_b32_e32 v60, 0x400, v0
	;; [unrolled: 1-line block ×3, first 2 shown]
                                        ; implicit-def: $vgpr51
                                        ; implicit-def: $vgpr56
                                        ; implicit-def: $vgpr54
                                        ; implicit-def: $vgpr58
                                        ; implicit-def: $vgpr53
	s_waitcnt lgkmcnt(0)
	v_mul_lo_u32 v5, s2, v8
	v_mul_lo_u32 v6, s3, v7
	v_mad_u64_u32 v[1:2], null, s2, v7, v[3:4]
	v_cmp_gt_u64_e32 vcc_lo, s[0:1], v[7:8]
	v_cmp_le_u64_e64 s0, s[0:1], v[7:8]
	s_delay_alu instid0(VALU_DEP_3) | instskip(NEXT) | instid1(VALU_DEP_2)
	v_add3_u32 v2, v6, v2, v5
	s_and_saveexec_b32 s1, s0
	s_delay_alu instid0(SALU_CYCLE_1)
	s_xor_b32 s0, exec_lo, s1
; %bb.10:
	v_or_b32_e32 v51, 0x100, v0
	v_or_b32_e32 v56, 0x300, v0
	;; [unrolled: 1-line block ×5, first 2 shown]
; %bb.11:
	s_or_saveexec_b32 s1, s0
	v_lshlrev_b64 v[49:50], 4, v[1:2]
	v_or_b32_e32 v69, 0x600, v0
	v_or_b32_e32 v67, 0x800, v0
	;; [unrolled: 1-line block ×6, first 2 shown]
                                        ; implicit-def: $vgpr7_vgpr8
                                        ; implicit-def: $vgpr19_vgpr20
                                        ; implicit-def: $vgpr11_vgpr12
                                        ; implicit-def: $vgpr35_vgpr36
                                        ; implicit-def: $vgpr43_vgpr44
                                        ; implicit-def: $vgpr27_vgpr28
                                        ; implicit-def: $vgpr31_vgpr32
                                        ; implicit-def: $vgpr39_vgpr40
                                        ; implicit-def: $vgpr47_vgpr48
                                        ; implicit-def: $vgpr15_vgpr16
                                        ; implicit-def: $vgpr23_vgpr24
                                        ; implicit-def: $vgpr3_vgpr4
	s_xor_b32 exec_lo, exec_lo, s1
	s_cbranch_execz .LBB0_13
; %bb.12:
	v_mad_u64_u32 v[1:2], null, s8, v0, 0
	v_mad_u64_u32 v[3:4], null, s8, v63, 0
	;; [unrolled: 1-line block ×5, first 2 shown]
	s_delay_alu instid0(VALU_DEP_4) | instskip(SKIP_2) | instid1(VALU_DEP_1)
	v_mad_u64_u32 v[5:6], null, s9, v0, v[2:3]
	v_mov_b32_e32 v2, v4
	v_add_co_u32 v40, s0, s10, v49
	v_add_co_ci_u32_e64 v43, s0, s11, v50, s0
	s_delay_alu instid0(VALU_DEP_3) | instskip(SKIP_3) | instid1(VALU_DEP_4)
	v_mad_u64_u32 v[6:7], null, s9, v63, v[2:3]
	v_dual_mov_b32 v2, v5 :: v_dual_mov_b32 v5, v10
	v_mad_u64_u32 v[13:14], null, s8, v67, 0
	v_mad_u64_u32 v[15:16], null, s8, v65, 0
	v_mov_b32_e32 v4, v6
	s_delay_alu instid0(VALU_DEP_4) | instskip(SKIP_2) | instid1(VALU_DEP_4)
	v_lshlrev_b64 v[1:2], 4, v[1:2]
	v_mad_u64_u32 v[6:7], null, s9, v60, v[5:6]
	v_mad_u64_u32 v[25:26], null, s8, v64, 0
	v_lshlrev_b64 v[3:4], 4, v[3:4]
	s_delay_alu instid0(VALU_DEP_4) | instskip(NEXT) | instid1(VALU_DEP_1)
	v_add_co_u32 v1, s0, v40, v1
	v_add_co_ci_u32_e64 v2, s0, v43, v2, s0
	v_mad_u64_u32 v[31:32], null, s8, v62, 0
	s_delay_alu instid0(VALU_DEP_4) | instskip(SKIP_3) | instid1(VALU_DEP_3)
	v_add_co_u32 v7, s0, v40, v3
	v_dual_mov_b32 v3, v12 :: v_dual_mov_b32 v10, v6
	v_mad_u64_u32 v[36:37], null, s8, v68, 0
	v_add_co_ci_u32_e64 v8, s0, v43, v4, s0
	v_mad_u64_u32 v[17:18], null, s9, v69, v[3:4]
	s_delay_alu instid0(VALU_DEP_4)
	v_lshlrev_b64 v[9:10], 4, v[9:10]
	s_clause 0x1
	global_load_b128 v[1:4], v[1:2], off
	global_load_b128 v[5:8], v[7:8], off
	v_mov_b32_e32 v58, v60
	v_mov_b32_e32 v54, v63
	v_dual_mov_b32 v56, v61 :: v_dual_mov_b32 v53, v62
	v_mov_b32_e32 v12, v17
	v_mad_u64_u32 v[17:18], null, s9, v67, v[14:15]
	v_add_co_u32 v9, s0, v40, v9
	s_delay_alu instid0(VALU_DEP_1) | instskip(NEXT) | instid1(VALU_DEP_3)
	v_add_co_ci_u32_e64 v10, s0, v43, v10, s0
	v_mad_u64_u32 v[18:19], null, s9, v65, v[16:17]
	v_dual_mov_b32 v14, v17 :: v_dual_mov_b32 v17, v26
	v_lshlrev_b64 v[11:12], 4, v[11:12]
	s_delay_alu instid0(VALU_DEP_2) | instskip(NEXT) | instid1(VALU_DEP_4)
	v_lshlrev_b64 v[13:14], 4, v[13:14]
	v_mov_b32_e32 v16, v18
	s_delay_alu instid0(VALU_DEP_4) | instskip(NEXT) | instid1(VALU_DEP_4)
	v_mad_u64_u32 v[18:19], null, s9, v64, v[17:18]
	v_add_co_u32 v11, s0, v40, v11
	s_delay_alu instid0(VALU_DEP_3) | instskip(SKIP_2) | instid1(VALU_DEP_1)
	v_lshlrev_b64 v[15:16], 4, v[15:16]
	v_add_co_ci_u32_e64 v12, s0, v43, v12, s0
	v_add_co_u32 v13, s0, v40, v13
	v_add_co_ci_u32_e64 v14, s0, v43, v14, s0
	s_delay_alu instid0(VALU_DEP_4) | instskip(SKIP_3) | instid1(VALU_DEP_3)
	v_add_co_u32 v29, s0, v40, v15
	v_mov_b32_e32 v15, v28
	v_add_co_ci_u32_e64 v30, s0, v43, v16, s0
	v_mov_b32_e32 v26, v18
	v_mad_u64_u32 v[33:34], null, s9, v61, v[15:16]
	v_mad_u64_u32 v[34:35], null, s8, v70, 0
	s_clause 0x3
	global_load_b128 v[17:20], v[9:10], off
	global_load_b128 v[21:24], v[11:12], off
	;; [unrolled: 1-line block ×4, first 2 shown]
	v_mov_b32_e32 v29, v32
	v_lshlrev_b64 v[25:26], 4, v[25:26]
	v_mov_b32_e32 v28, v33
	v_mov_b32_e32 v30, v35
	s_delay_alu instid0(VALU_DEP_3) | instskip(NEXT) | instid1(VALU_DEP_3)
	v_add_co_u32 v25, s0, v40, v25
	v_lshlrev_b64 v[27:28], 4, v[27:28]
	s_delay_alu instid0(VALU_DEP_3)
	v_mad_u64_u32 v[32:33], null, s9, v62, v[29:30]
	v_mad_u64_u32 v[38:39], null, s9, v70, v[30:31]
	;; [unrolled: 1-line block ×3, first 2 shown]
	v_mov_b32_e32 v33, v37
	v_add_co_ci_u32_e64 v26, s0, v43, v26, s0
	v_lshlrev_b64 v[31:32], 4, v[31:32]
	v_mov_b32_e32 v35, v38
	s_delay_alu instid0(VALU_DEP_4) | instskip(SKIP_1) | instid1(VALU_DEP_4)
	v_mad_u64_u32 v[37:38], null, s9, v68, v[33:34]
	v_add_co_u32 v27, s0, v40, v27
	v_mad_u64_u32 v[38:39], null, s9, v66, v[30:31]
	s_delay_alu instid0(VALU_DEP_4)
	v_lshlrev_b64 v[33:34], 4, v[34:35]
	v_add_co_ci_u32_e64 v28, s0, v43, v28, s0
	v_add_co_u32 v31, s0, v40, v31
	v_lshlrev_b64 v[35:36], 4, v[36:37]
	v_mov_b32_e32 v30, v38
	v_add_co_ci_u32_e64 v32, s0, v43, v32, s0
	v_add_co_u32 v41, s0, v40, v33
	s_delay_alu instid0(VALU_DEP_3) | instskip(SKIP_2) | instid1(VALU_DEP_1)
	v_lshlrev_b64 v[29:30], 4, v[29:30]
	v_add_co_ci_u32_e64 v42, s0, v43, v34, s0
	v_add_co_u32 v51, s0, v40, v35
	v_add_co_ci_u32_e64 v52, s0, v43, v36, s0
	s_delay_alu instid0(VALU_DEP_4) | instskip(NEXT) | instid1(VALU_DEP_1)
	v_add_co_u32 v29, s0, v40, v29
	v_add_co_ci_u32_e64 v30, s0, v43, v30, s0
	s_clause 0x5
	global_load_b128 v[33:36], v[25:26], off
	global_load_b128 v[45:48], v[27:28], off
	;; [unrolled: 1-line block ×6, first 2 shown]
	v_mov_b32_e32 v51, v64
.LBB0_13:
	s_or_b32 exec_lo, exec_lo, s1
	s_waitcnt vmcnt(6)
	v_add_f64 v[71:72], v[9:10], v[21:22]
	s_waitcnt vmcnt(0)
	v_add_f64 v[73:74], v[41:42], v[29:30]
	v_add_f64 v[75:76], v[11:12], v[23:24]
	;; [unrolled: 1-line block ×3, first 2 shown]
	v_add_f64 v[79:80], v[23:24], -v[11:12]
	v_add_f64 v[81:82], v[43:44], -v[31:32]
	;; [unrolled: 1-line block ×4, first 2 shown]
	s_mov_b32 s2, 0xe8584caa
	s_mov_b32 s3, 0x3febb67a
	;; [unrolled: 1-line block ×4, first 2 shown]
	v_add_f64 v[87:88], v[17:18], v[13:14]
	v_add_f64 v[95:96], v[27:28], v[39:40]
	v_add_f64 v[41:42], v[41:42], v[45:46]
	v_add_f64 v[43:44], v[43:44], v[47:48]
	v_fma_f64 v[71:72], v[71:72], -0.5, v[5:6]
	v_fma_f64 v[73:74], v[73:74], -0.5, v[45:46]
	;; [unrolled: 1-line block ×4, first 2 shown]
	v_add_f64 v[5:6], v[5:6], v[21:22]
	v_add_f64 v[7:8], v[7:8], v[23:24]
	;; [unrolled: 1-line block ×3, first 2 shown]
	v_add_f64 v[23:24], v[19:20], -v[15:16]
	v_add_f64 v[45:46], v[33:34], v[37:38]
	v_add_f64 v[47:48], v[39:40], -v[27:28]
	v_add_f64 v[17:18], v[17:18], -v[13:14]
	v_fma_f64 v[1:2], v[87:88], -0.5, v[1:2]
	v_fma_f64 v[89:90], v[79:80], s[2:3], v[71:72]
	v_fma_f64 v[71:72], v[79:80], s[0:1], v[71:72]
	v_add_f64 v[79:80], v[25:26], v[37:38]
	v_fma_f64 v[91:92], v[81:82], s[2:3], v[73:74]
	v_fma_f64 v[73:74], v[81:82], s[0:1], v[73:74]
	v_add_f64 v[81:82], v[19:20], v[15:16]
	v_fma_f64 v[93:94], v[83:84], s[2:3], v[75:76]
	v_fma_f64 v[97:98], v[85:86], s[2:3], v[77:78]
	;; [unrolled: 1-line block ×4, first 2 shown]
	v_add_f64 v[37:38], v[37:38], -v[25:26]
	v_add_f64 v[13:14], v[13:14], v[21:22]
	v_add_f64 v[9:10], v[9:10], v[5:6]
	;; [unrolled: 1-line block ×4, first 2 shown]
	v_fma_f64 v[29:30], v[23:24], s[2:3], v[1:2]
	v_fma_f64 v[41:42], v[23:24], s[0:1], v[1:2]
	v_mul_lo_u16 v1, 0xab, v0
	v_mul_f64 v[83:84], v[89:90], 0.5
	v_mul_f64 v[87:88], v[71:72], -0.5
	v_fma_f64 v[33:34], v[79:80], -0.5, v[33:34]
	v_mul_f64 v[79:80], v[91:92], 0.5
	v_mul_f64 v[85:86], v[73:74], -0.5
	v_fma_f64 v[81:82], v[81:82], -0.5, v[3:4]
	v_add_f64 v[3:4], v[19:20], v[3:4]
	v_add_f64 v[19:20], v[35:36], v[39:40]
	v_mul_f64 v[39:40], v[89:90], s[0:1]
	v_mul_f64 v[89:90], v[93:94], -0.5
	v_fma_f64 v[35:36], v[95:96], -0.5, v[35:36]
	v_mul_f64 v[91:92], v[91:92], s[0:1]
	v_mul_f64 v[95:96], v[97:98], -0.5
	v_add_f64 v[5:6], v[9:10], v[13:14]
	v_fma_f64 v[23:24], v[75:76], s[2:3], v[83:84]
	v_fma_f64 v[45:46], v[93:94], s[2:3], v[87:88]
	;; [unrolled: 1-line block ×6, first 2 shown]
	v_add_f64 v[2:3], v[15:16], v[3:4]
	v_add_f64 v[85:86], v[11:12], v[7:8]
	v_fma_f64 v[93:94], v[17:18], s[0:1], v[81:82]
	v_fma_f64 v[75:76], v[75:76], 0.5, v[39:40]
	v_fma_f64 v[81:82], v[17:18], s[2:3], v[81:82]
	v_fma_f64 v[71:72], v[71:72], s[0:1], v[89:90]
	v_add_f64 v[27:28], v[27:28], v[19:20]
	v_add_f64 v[87:88], v[31:32], v[43:44]
	v_fma_f64 v[89:90], v[37:38], s[0:1], v[35:36]
	v_fma_f64 v[91:92], v[77:78], 0.5, v[91:92]
	v_fma_f64 v[97:98], v[37:38], s[2:3], v[35:36]
	v_fma_f64 v[95:96], v[73:74], s[0:1], v[95:96]
	v_add_f64 v[11:12], v[13:14], -v[9:10]
	v_add_f64 v[14:15], v[21:22], v[25:26]
	v_add_f64 v[20:21], v[21:22], -v[25:26]
	v_lshrrev_b16 v4, 10, v1
	v_mul_u32_u24_e32 v26, 6, v0
	v_cmp_gt_u32_e64 s0, 0x180, v51
	s_delay_alu instid0(VALU_DEP_3) | instskip(SKIP_1) | instid1(VALU_DEP_2)
	v_mul_lo_u16 v13, v4, 6
	v_and_b32_e32 v4, 0xffff, v4
	v_sub_nc_u16 v13, v0, v13
	v_add_f64 v[7:8], v[29:30], v[23:24]
	v_add_f64 v[9:10], v[41:42], v[45:46]
	v_add_f64 v[22:23], v[29:30], -v[23:24]
	v_add_f64 v[24:25], v[41:42], -v[45:46]
	v_add_f64 v[16:17], v[83:84], v[47:48]
	v_add_f64 v[18:19], v[33:34], v[79:80]
	v_add_f64 v[32:33], v[33:34], -v[79:80]
	v_add_f64 v[34:35], v[85:86], v[2:3]
	v_add_f64 v[40:41], v[2:3], -v[85:86]
	;; [unrolled: 2-line block ×7, first 2 shown]
	v_add_f64 v[81:82], v[97:98], -v[95:96]
	v_and_b32_e32 v46, 0xffff, v51
	v_and_b32_e32 v48, 0xff, v13
	v_mul_i32_i24_e32 v29, 6, v51
	v_lshl_add_u32 v2, v26, 3, 0
	v_lshl_add_u32 v28, v56, 3, 0
	v_mul_u32_u24_e32 v3, 0xaaab, v46
	v_mul_u32_u24_e32 v46, 3, v48
	v_lshl_add_u32 v26, v29, 3, 0
	v_mad_i32_i24 v29, 0xffffffd8, v0, v2
	v_lshl_add_u32 v27, v54, 3, 0
	v_lshrrev_b32_e32 v52, 18, v3
	v_lshlrev_b32_e32 v57, 4, v46
	v_mad_i32_i24 v13, 0xffffffd8, v51, v26
	ds_store_b128 v2, v[5:8]
	ds_store_b128 v2, v[9:12] offset:16
	ds_store_b128 v2, v[22:25] offset:32
	ds_store_b128 v26, v[14:17]
	ds_store_b128 v26, v[18:21] offset:16
	ds_store_b128 v26, v[30:33] offset:32
	v_mul_lo_u16 v55, v52, 6
	s_waitcnt lgkmcnt(0)
	s_barrier
	buffer_gl0_inv
	ds_load_2addr_stride64_b64 v[5:8], v29 offset1:16
	ds_load_2addr_stride64_b64 v[9:12], v29 offset0:20 offset1:24
	ds_load_2addr_stride64_b64 v[14:17], v29 offset0:36 offset1:40
	;; [unrolled: 1-line block ×3, first 2 shown]
	ds_load_b64 v[46:47], v13
	ds_load_b64 v[83:84], v27
	;; [unrolled: 1-line block ×3, first 2 shown]
	ds_load_b64 v[87:88], v29 offset:22528
	s_waitcnt lgkmcnt(0)
	s_barrier
	buffer_gl0_inv
	ds_store_b128 v2, v[34:37]
	ds_store_b128 v2, v[38:41] offset:16
	ds_store_b128 v2, v[75:78] offset:32
	ds_store_b128 v26, v[42:45]
	ds_store_b128 v26, v[71:74] offset:16
	ds_store_b128 v26, v[79:82] offset:32
	s_waitcnt lgkmcnt(0)
	s_barrier
	buffer_gl0_inv
	global_load_b128 v[22:25], v57, s[4:5] offset:32
	v_sub_nc_u16 v55, v51, v55
	s_delay_alu instid0(VALU_DEP_1) | instskip(NEXT) | instid1(VALU_DEP_1)
	v_mul_lo_u16 v2, v55, 3
	v_and_b32_e32 v2, 0xffff, v2
	s_delay_alu instid0(VALU_DEP_1) | instskip(SKIP_3) | instid1(VALU_DEP_1)
	v_lshlrev_b32_e32 v59, 4, v2
	v_and_b32_e32 v2, 0xffff, v54
	global_load_b128 v[30:33], v59, s[4:5] offset:32
	v_mul_u32_u24_e32 v2, 0xaaab, v2
	v_lshrrev_b32_e32 v99, 18, v2
	s_delay_alu instid0(VALU_DEP_1) | instskip(NEXT) | instid1(VALU_DEP_1)
	v_mul_lo_u16 v34, v99, 6
	v_sub_nc_u16 v100, v54, v34
	s_delay_alu instid0(VALU_DEP_1) | instskip(NEXT) | instid1(VALU_DEP_1)
	v_mul_lo_u16 v34, v100, 3
	v_and_b32_e32 v34, 0xffff, v34
	s_delay_alu instid0(VALU_DEP_1)
	v_lshlrev_b32_e32 v101, 4, v34
	s_clause 0x4
	global_load_b128 v[34:37], v57, s[4:5] offset:16
	global_load_b128 v[38:41], v101, s[4:5]
	global_load_b128 v[42:45], v57, s[4:5]
	global_load_b128 v[71:74], v59, s[4:5] offset:16
	global_load_b128 v[75:78], v59, s[4:5]
	ds_load_2addr_stride64_b64 v[79:82], v29 offset0:36 offset1:40
	v_lshrrev_b16 v57, 12, v1
	v_mul_u32_u24_e32 v59, 24, v4
	v_lshrrev_b16 v1, 14, v1
	s_waitcnt vmcnt(6) lgkmcnt(0)
	v_mul_f64 v[89:90], v[79:80], v[24:25]
	v_mul_f64 v[24:25], v[14:15], v[24:25]
	s_waitcnt vmcnt(5)
	v_mul_f64 v[91:92], v[81:82], v[32:33]
	v_mul_f64 v[32:33], v[16:17], v[32:33]
	s_delay_alu instid0(VALU_DEP_4) | instskip(NEXT) | instid1(VALU_DEP_4)
	v_fma_f64 v[89:90], v[14:15], v[22:23], -v[89:90]
	v_fma_f64 v[79:80], v[79:80], v[22:23], v[24:25]
	ds_load_2addr_stride64_b64 v[22:25], v29 offset0:20 offset1:24
	v_fma_f64 v[91:92], v[16:17], v[30:31], -v[91:92]
	s_waitcnt vmcnt(4) lgkmcnt(0)
	v_mul_f64 v[93:94], v[24:25], v[36:37]
	v_mul_f64 v[36:37], v[11:12], v[36:37]
	v_fma_f64 v[30:31], v[81:82], v[30:31], v[32:33]
	s_waitcnt vmcnt(3)
	v_mul_f64 v[32:33], v[22:23], v[40:41]
	v_mul_f64 v[40:41], v[9:10], v[40:41]
	ds_load_b64 v[81:82], v28
	global_load_b128 v[14:17], v101, s[4:5] offset:16
	v_fma_f64 v[93:94], v[11:12], v[34:35], -v[93:94]
	v_fma_f64 v[34:35], v[24:25], v[34:35], v[36:37]
	ds_load_b64 v[36:37], v27
	ds_load_b64 v[95:96], v13
	v_fma_f64 v[32:33], v[9:10], v[38:39], -v[32:33]
	s_waitcnt vmcnt(3) lgkmcnt(2)
	v_mul_f64 v[24:25], v[81:82], v[44:45]
	v_fma_f64 v[38:39], v[22:23], v[38:39], v[40:41]
	v_mul_f64 v[22:23], v[85:86], v[44:45]
	ds_load_2addr_stride64_b64 v[9:12], v29 offset0:28 offset1:32
	ds_load_b64 v[97:98], v29 offset:22528
	s_waitcnt vmcnt(2) lgkmcnt(1)
	v_mul_f64 v[40:41], v[9:10], v[73:74]
	v_mul_f64 v[73:74], v[18:19], v[73:74]
	v_fma_f64 v[44:45], v[85:86], v[42:43], -v[24:25]
	v_fma_f64 v[42:43], v[81:82], v[42:43], v[22:23]
	ds_load_2addr_stride64_b64 v[22:25], v29 offset1:16
	s_waitcnt vmcnt(1) lgkmcnt(0)
	v_mul_f64 v[81:82], v[24:25], v[77:78]
	v_fma_f64 v[18:19], v[18:19], v[71:72], -v[40:41]
	v_fma_f64 v[40:41], v[9:10], v[71:72], v[73:74]
	v_mul_f64 v[9:10], v[7:8], v[77:78]
	v_add_f64 v[34:35], v[22:23], -v[34:35]
	v_fma_f64 v[71:72], v[7:8], v[75:76], -v[81:82]
	s_delay_alu instid0(VALU_DEP_4) | instskip(NEXT) | instid1(VALU_DEP_4)
	v_add_f64 v[40:41], v[95:96], -v[40:41]
	v_fma_f64 v[24:25], v[24:25], v[75:76], v[9:10]
	global_load_b128 v[7:10], v101, s[4:5] offset:32
	v_add_f64 v[75:76], v[42:43], -v[79:80]
	v_fma_f64 v[22:23], v[22:23], 2.0, -v[34:35]
	s_waitcnt vmcnt(0)
	s_barrier
	buffer_gl0_inv
	v_fma_f64 v[79:80], v[95:96], 2.0, -v[40:41]
	v_add_f64 v[30:31], v[24:25], -v[30:31]
	v_fma_f64 v[42:43], v[42:43], 2.0, -v[75:76]
	s_delay_alu instid0(VALU_DEP_2) | instskip(NEXT) | instid1(VALU_DEP_2)
	v_fma_f64 v[24:25], v[24:25], 2.0, -v[30:31]
	v_add_f64 v[42:43], v[22:23], -v[42:43]
	s_delay_alu instid0(VALU_DEP_2) | instskip(NEXT) | instid1(VALU_DEP_2)
	v_add_f64 v[24:25], v[79:80], -v[24:25]
	v_fma_f64 v[22:23], v[22:23], 2.0, -v[42:43]
	v_mul_f64 v[73:74], v[11:12], v[16:17]
	v_mul_f64 v[16:17], v[20:21], v[16:17]
	s_delay_alu instid0(VALU_DEP_2) | instskip(NEXT) | instid1(VALU_DEP_2)
	v_fma_f64 v[73:74], v[20:21], v[14:15], -v[73:74]
	v_fma_f64 v[11:12], v[11:12], v[14:15], v[16:17]
	v_add_f64 v[16:17], v[46:47], -v[18:19]
	v_add_f64 v[18:19], v[71:72], -v[91:92]
	;; [unrolled: 1-line block ×5, first 2 shown]
	v_fma_f64 v[46:47], v[46:47], 2.0, -v[16:17]
	v_fma_f64 v[71:72], v[71:72], 2.0, -v[18:19]
	;; [unrolled: 1-line block ×3, first 2 shown]
	v_add_f64 v[30:31], v[16:17], -v[30:31]
	v_add_f64 v[81:82], v[34:35], v[14:15]
	v_fma_f64 v[77:78], v[83:84], 2.0, -v[73:74]
	v_fma_f64 v[36:37], v[36:37], 2.0, -v[11:12]
	v_add_f64 v[83:84], v[40:41], v[18:19]
	v_add_f64 v[71:72], v[46:47], -v[71:72]
	v_fma_f64 v[14:15], v[16:17], 2.0, -v[30:31]
	v_fma_f64 v[34:35], v[34:35], 2.0, -v[81:82]
	v_mul_f64 v[20:21], v[97:98], v[9:10]
	v_mul_f64 v[9:10], v[87:88], v[9:10]
	v_fma_f64 v[40:41], v[40:41], 2.0, -v[83:84]
	v_fma_f64 v[16:17], v[46:47], 2.0, -v[71:72]
	v_mul_lo_u16 v46, v57, 24
	v_mul_lo_u16 v47, v52, 24
	;; [unrolled: 1-line block ×3, first 2 shown]
	v_lshrrev_b32_e32 v99, 20, v3
	s_delay_alu instid0(VALU_DEP_4) | instskip(NEXT) | instid1(VALU_DEP_4)
	v_sub_nc_u16 v46, v0, v46
	v_or_b32_e32 v55, v47, v55
	s_delay_alu instid0(VALU_DEP_4) | instskip(NEXT) | instid1(VALU_DEP_3)
	v_or_b32_e32 v52, v52, v100
	v_and_b32_e32 v4, 0xff, v46
	v_fma_f64 v[46:47], v[79:80], 2.0, -v[24:25]
	s_delay_alu instid0(VALU_DEP_3) | instskip(NEXT) | instid1(VALU_DEP_1)
	v_and_b32_e32 v52, 0xffff, v52
	v_lshl_add_u32 v52, v52, 3, 0
	v_fma_f64 v[20:21], v[87:88], v[7:8], -v[20:21]
	v_fma_f64 v[7:8], v[97:98], v[7:8], v[9:10]
	v_add_f64 v[9:10], v[5:6], -v[93:94]
	s_delay_alu instid0(VALU_DEP_3) | instskip(NEXT) | instid1(VALU_DEP_3)
	v_add_f64 v[20:21], v[32:33], -v[20:21]
	v_add_f64 v[7:8], v[38:39], -v[7:8]
	s_delay_alu instid0(VALU_DEP_3) | instskip(SKIP_1) | instid1(VALU_DEP_4)
	v_fma_f64 v[5:6], v[5:6], 2.0, -v[9:10]
	v_add_f64 v[75:76], v[9:10], -v[75:76]
	v_fma_f64 v[32:33], v[32:33], 2.0, -v[20:21]
	s_delay_alu instid0(VALU_DEP_4) | instskip(NEXT) | instid1(VALU_DEP_4)
	v_fma_f64 v[38:39], v[38:39], 2.0, -v[7:8]
	v_add_f64 v[44:45], v[5:6], -v[44:45]
	v_add_f64 v[7:8], v[73:74], -v[7:8]
	v_add_f64 v[85:86], v[11:12], v[20:21]
	v_fma_f64 v[9:10], v[9:10], 2.0, -v[75:76]
	v_add_f64 v[32:33], v[77:78], -v[32:33]
	v_add_f64 v[38:39], v[36:37], -v[38:39]
	v_fma_f64 v[5:6], v[5:6], 2.0, -v[44:45]
	v_fma_f64 v[18:19], v[73:74], 2.0, -v[7:8]
	;; [unrolled: 1-line block ×3, first 2 shown]
	v_or_b32_e32 v11, v59, v48
	v_mul_u32_u24_e32 v12, 3, v4
	v_and_b32_e32 v48, 0xffff, v55
	v_mul_lo_u16 v55, v99, 24
	s_delay_alu instid0(VALU_DEP_4) | instskip(NEXT) | instid1(VALU_DEP_3)
	v_lshl_add_u32 v59, v11, 3, 0
	v_lshl_add_u32 v48, v48, 3, 0
	v_fma_f64 v[20:21], v[77:78], 2.0, -v[32:33]
	v_fma_f64 v[36:37], v[36:37], 2.0, -v[38:39]
	v_lshlrev_b32_e32 v77, 4, v12
	ds_store_2addr_b64 v59, v[44:45], v[75:76] offset0:12 offset1:18
	ds_store_2addr_b64 v59, v[5:6], v[9:10] offset1:6
	ds_store_2addr_b64 v48, v[16:17], v[14:15] offset1:6
	ds_store_2addr_b64 v48, v[71:72], v[30:31] offset0:12 offset1:18
	ds_store_2addr_b64 v52, v[20:21], v[18:19] offset1:6
	ds_store_2addr_b64 v52, v[32:33], v[7:8] offset0:12 offset1:18
	s_waitcnt lgkmcnt(0)
	s_barrier
	buffer_gl0_inv
	ds_load_2addr_stride64_b64 v[5:8], v29 offset1:16
	ds_load_2addr_stride64_b64 v[9:12], v29 offset0:20 offset1:24
	ds_load_2addr_stride64_b64 v[14:17], v29 offset0:36 offset1:40
	ds_load_2addr_stride64_b64 v[18:21], v29 offset0:28 offset1:32
	ds_load_b64 v[87:88], v13
	ds_load_b64 v[89:90], v27
	;; [unrolled: 1-line block ×3, first 2 shown]
	ds_load_b64 v[93:94], v29 offset:22528
	s_waitcnt lgkmcnt(0)
	s_barrier
	buffer_gl0_inv
	ds_store_2addr_b64 v59, v[22:23], v[34:35] offset1:6
	ds_store_2addr_b64 v59, v[42:43], v[81:82] offset0:12 offset1:18
	ds_store_2addr_b64 v48, v[46:47], v[40:41] offset1:6
	ds_store_2addr_b64 v48, v[24:25], v[83:84] offset0:12 offset1:18
	;; [unrolled: 2-line block ×3, first 2 shown]
	s_waitcnt lgkmcnt(0)
	s_barrier
	buffer_gl0_inv
	global_load_b128 v[22:25], v77, s[4:5] offset:320
	v_sub_nc_u16 v48, v51, v55
	v_lshrrev_b32_e32 v52, 20, v2
	s_delay_alu instid0(VALU_DEP_2) | instskip(NEXT) | instid1(VALU_DEP_2)
	v_mul_lo_u16 v30, v48, 3
	v_mul_lo_u16 v34, v52, 24
	;; [unrolled: 1-line block ×3, first 2 shown]
	s_delay_alu instid0(VALU_DEP_3) | instskip(NEXT) | instid1(VALU_DEP_3)
	v_and_b32_e32 v30, 0xffff, v30
	v_sub_nc_u16 v55, v54, v34
	s_delay_alu instid0(VALU_DEP_2) | instskip(NEXT) | instid1(VALU_DEP_2)
	v_lshlrev_b32_e32 v46, 4, v30
	v_mul_lo_u16 v34, v55, 3
	v_or_b32_e32 v52, v52, v55
	global_load_b128 v[30:33], v46, s[4:5] offset:320
	v_and_b32_e32 v34, 0xffff, v34
	v_and_b32_e32 v52, 0xffff, v52
	s_delay_alu instid0(VALU_DEP_2)
	v_lshlrev_b32_e32 v59, 4, v34
	s_clause 0x4
	global_load_b128 v[34:37], v77, s[4:5] offset:304
	global_load_b128 v[38:41], v59, s[4:5] offset:288
	;; [unrolled: 1-line block ×5, first 2 shown]
	ds_load_2addr_stride64_b64 v[79:82], v29 offset0:36 offset1:40
	v_lshl_add_u32 v52, v52, 3, 0
	s_waitcnt vmcnt(6) lgkmcnt(0)
	v_mul_f64 v[46:47], v[79:80], v[24:25]
	v_mul_f64 v[24:25], v[14:15], v[24:25]
	s_waitcnt vmcnt(5)
	v_mul_f64 v[83:84], v[81:82], v[32:33]
	v_mul_f64 v[32:33], v[16:17], v[32:33]
	s_delay_alu instid0(VALU_DEP_4) | instskip(NEXT) | instid1(VALU_DEP_4)
	v_fma_f64 v[46:47], v[14:15], v[22:23], -v[46:47]
	v_fma_f64 v[79:80], v[79:80], v[22:23], v[24:25]
	ds_load_2addr_stride64_b64 v[22:25], v29 offset0:20 offset1:24
	v_fma_f64 v[83:84], v[16:17], v[30:31], -v[83:84]
	s_waitcnt vmcnt(4) lgkmcnt(0)
	v_mul_f64 v[85:86], v[24:25], v[36:37]
	v_mul_f64 v[36:37], v[11:12], v[36:37]
	v_fma_f64 v[30:31], v[81:82], v[30:31], v[32:33]
	s_waitcnt vmcnt(3)
	v_mul_f64 v[32:33], v[22:23], v[40:41]
	v_mul_f64 v[40:41], v[9:10], v[40:41]
	ds_load_b64 v[81:82], v28
	global_load_b128 v[14:17], v59, s[4:5] offset:304
	v_fma_f64 v[85:86], v[11:12], v[34:35], -v[85:86]
	v_fma_f64 v[34:35], v[24:25], v[34:35], v[36:37]
	ds_load_b64 v[36:37], v27
	ds_load_b64 v[95:96], v13
	v_fma_f64 v[32:33], v[9:10], v[38:39], -v[32:33]
	s_waitcnt vmcnt(3) lgkmcnt(2)
	v_mul_f64 v[24:25], v[81:82], v[44:45]
	v_fma_f64 v[38:39], v[22:23], v[38:39], v[40:41]
	v_mul_f64 v[22:23], v[91:92], v[44:45]
	ds_load_2addr_stride64_b64 v[9:12], v29 offset0:28 offset1:32
	ds_load_b64 v[97:98], v29 offset:22528
	s_waitcnt vmcnt(2) lgkmcnt(1)
	v_mul_f64 v[40:41], v[9:10], v[73:74]
	v_mul_f64 v[73:74], v[18:19], v[73:74]
	v_fma_f64 v[44:45], v[91:92], v[42:43], -v[24:25]
	v_fma_f64 v[42:43], v[81:82], v[42:43], v[22:23]
	ds_load_2addr_stride64_b64 v[22:25], v29 offset1:16
	s_waitcnt vmcnt(1) lgkmcnt(0)
	v_mul_f64 v[81:82], v[24:25], v[77:78]
	v_fma_f64 v[18:19], v[18:19], v[71:72], -v[40:41]
	v_fma_f64 v[40:41], v[9:10], v[71:72], v[73:74]
	v_mul_f64 v[9:10], v[7:8], v[77:78]
	v_add_f64 v[34:35], v[22:23], -v[34:35]
	v_fma_f64 v[71:72], v[7:8], v[75:76], -v[81:82]
	s_delay_alu instid0(VALU_DEP_4) | instskip(NEXT) | instid1(VALU_DEP_4)
	v_add_f64 v[40:41], v[95:96], -v[40:41]
	v_fma_f64 v[24:25], v[24:25], v[75:76], v[9:10]
	global_load_b128 v[7:10], v59, s[4:5] offset:320
	v_fma_f64 v[22:23], v[22:23], 2.0, -v[34:35]
	s_waitcnt vmcnt(0)
	s_barrier
	buffer_gl0_inv
	v_add_f64 v[30:31], v[24:25], -v[30:31]
	s_delay_alu instid0(VALU_DEP_1) | instskip(SKIP_2) | instid1(VALU_DEP_2)
	v_fma_f64 v[24:25], v[24:25], 2.0, -v[30:31]
	v_mul_f64 v[73:74], v[11:12], v[16:17]
	v_mul_f64 v[16:17], v[20:21], v[16:17]
	v_fma_f64 v[73:74], v[20:21], v[14:15], -v[73:74]
	s_delay_alu instid0(VALU_DEP_2)
	v_fma_f64 v[11:12], v[11:12], v[14:15], v[16:17]
	v_add_f64 v[14:15], v[44:45], -v[46:47]
	v_add_f64 v[16:17], v[87:88], -v[18:19]
	v_add_f64 v[18:19], v[71:72], -v[83:84]
	v_add_f64 v[46:47], v[89:90], -v[73:74]
	v_add_f64 v[73:74], v[42:43], -v[79:80]
	v_add_f64 v[11:12], v[36:37], -v[11:12]
	v_fma_f64 v[44:45], v[44:45], 2.0, -v[14:15]
	v_fma_f64 v[75:76], v[87:88], 2.0, -v[16:17]
	;; [unrolled: 1-line block ×4, first 2 shown]
	v_add_f64 v[30:31], v[16:17], -v[30:31]
	v_add_f64 v[81:82], v[34:35], v[14:15]
	v_add_f64 v[83:84], v[40:41], v[18:19]
	v_fma_f64 v[77:78], v[89:90], 2.0, -v[46:47]
	v_fma_f64 v[42:43], v[42:43], 2.0, -v[73:74]
	;; [unrolled: 1-line block ×3, first 2 shown]
	v_add_f64 v[71:72], v[75:76], -v[71:72]
	v_fma_f64 v[14:15], v[16:17], 2.0, -v[30:31]
	v_fma_f64 v[34:35], v[34:35], 2.0, -v[81:82]
	;; [unrolled: 1-line block ×3, first 2 shown]
	v_mul_f64 v[20:21], v[97:98], v[9:10]
	v_mul_f64 v[9:10], v[93:94], v[9:10]
	v_add_f64 v[42:43], v[22:23], -v[42:43]
	v_fma_f64 v[18:19], v[75:76], 2.0, -v[71:72]
	s_delay_alu instid0(VALU_DEP_4) | instskip(NEXT) | instid1(VALU_DEP_4)
	v_fma_f64 v[20:21], v[93:94], v[7:8], -v[20:21]
	v_fma_f64 v[7:8], v[97:98], v[7:8], v[9:10]
	v_add_f64 v[9:10], v[5:6], -v[85:86]
	v_add_f64 v[85:86], v[79:80], -v[24:25]
	s_delay_alu instid0(VALU_DEP_4) | instskip(NEXT) | instid1(VALU_DEP_4)
	v_add_f64 v[20:21], v[32:33], -v[20:21]
	v_add_f64 v[7:8], v[38:39], -v[7:8]
	s_delay_alu instid0(VALU_DEP_4)
	v_fma_f64 v[5:6], v[5:6], 2.0, -v[9:10]
	v_add_f64 v[73:74], v[9:10], -v[73:74]
	v_fma_f64 v[75:76], v[79:80], 2.0, -v[85:86]
	v_fma_f64 v[32:33], v[32:33], 2.0, -v[20:21]
	;; [unrolled: 1-line block ×3, first 2 shown]
	v_add_f64 v[44:45], v[5:6], -v[44:45]
	v_add_f64 v[7:8], v[46:47], -v[7:8]
	v_add_f64 v[87:88], v[11:12], v[20:21]
	v_fma_f64 v[9:10], v[9:10], 2.0, -v[73:74]
	v_add_f64 v[32:33], v[77:78], -v[32:33]
	v_add_f64 v[38:39], v[36:37], -v[38:39]
	v_fma_f64 v[16:17], v[5:6], 2.0, -v[44:45]
	v_mul_lo_u16 v5, 0x60, v1
	v_fma_f64 v[20:21], v[46:47], 2.0, -v[7:8]
	v_mul_lo_u16 v47, 0x60, v99
	v_fma_f64 v[11:12], v[11:12], 2.0, -v[87:88]
	v_and_b32_e32 v6, 0xffff, v57
	v_sub_nc_u16 v46, v0, v5
	v_lshrrev_b32_e32 v5, 22, v3
	v_or_b32_e32 v48, v47, v48
	s_delay_alu instid0(VALU_DEP_4) | instskip(NEXT) | instid1(VALU_DEP_4)
	v_mul_u32_u24_e32 v6, 0x60, v6
	v_and_b32_e32 v3, 0xff, v46
	v_fma_f64 v[46:47], v[22:23], 2.0, -v[42:43]
	s_delay_alu instid0(VALU_DEP_4) | instskip(SKIP_3) | instid1(VALU_DEP_4)
	v_and_b32_e32 v48, 0xffff, v48
	v_mul_lo_u16 v22, 0x60, v5
	v_or_b32_e32 v6, v6, v4
	v_mul_u32_u24_e32 v23, 3, v3
	v_lshl_add_u32 v48, v48, 3, 0
	s_delay_alu instid0(VALU_DEP_4) | instskip(NEXT) | instid1(VALU_DEP_4)
	v_sub_nc_u16 v4, v51, v22
	v_lshl_add_u32 v55, v6, 3, 0
	s_delay_alu instid0(VALU_DEP_4)
	v_lshlrev_b32_e32 v57, 4, v23
	v_fma_f64 v[24:25], v[77:78], 2.0, -v[32:33]
	v_fma_f64 v[36:37], v[36:37], 2.0, -v[38:39]
	ds_store_2addr_b64 v55, v[44:45], v[73:74] offset0:48 offset1:72
	ds_store_2addr_b64 v55, v[16:17], v[9:10] offset1:24
	ds_store_2addr_b64 v48, v[18:19], v[14:15] offset1:24
	ds_store_2addr_b64 v48, v[71:72], v[30:31] offset0:48 offset1:72
	ds_store_2addr_b64 v52, v[24:25], v[20:21] offset1:24
	ds_store_2addr_b64 v52, v[32:33], v[7:8] offset0:48 offset1:72
	s_waitcnt lgkmcnt(0)
	s_barrier
	buffer_gl0_inv
	ds_load_2addr_stride64_b64 v[6:9], v29 offset1:16
	ds_load_2addr_stride64_b64 v[14:17], v29 offset0:20 offset1:24
	ds_load_2addr_stride64_b64 v[18:21], v29 offset0:36 offset1:40
	;; [unrolled: 1-line block ×3, first 2 shown]
	ds_load_b64 v[95:96], v13
	ds_load_b64 v[97:98], v27
	;; [unrolled: 1-line block ×3, first 2 shown]
	ds_load_b64 v[101:102], v29 offset:22528
	s_waitcnt lgkmcnt(0)
	s_barrier
	buffer_gl0_inv
	ds_store_2addr_b64 v55, v[46:47], v[34:35] offset1:24
	ds_store_2addr_b64 v55, v[42:43], v[81:82] offset0:48 offset1:72
	ds_store_2addr_b64 v48, v[75:76], v[40:41] offset1:24
	ds_store_2addr_b64 v48, v[85:86], v[83:84] offset0:48 offset1:72
	;; [unrolled: 2-line block ×3, first 2 shown]
	s_waitcnt lgkmcnt(0)
	s_barrier
	buffer_gl0_inv
	global_load_b128 v[30:33], v57, s[4:5] offset:1472
	v_mul_lo_u16 v10, v4, 3
	v_lshrrev_b32_e32 v12, 22, v2
	v_and_b32_e32 v55, 0xffff, v1
	s_delay_alu instid0(VALU_DEP_3) | instskip(NEXT) | instid1(VALU_DEP_3)
	v_and_b32_e32 v10, 0xffff, v10
	v_mul_lo_u16 v2, 0x60, v12
	s_delay_alu instid0(VALU_DEP_2) | instskip(NEXT) | instid1(VALU_DEP_2)
	v_lshlrev_b32_e32 v10, 4, v10
	v_sub_nc_u16 v48, v54, v2
	global_load_b128 v[34:37], v10, s[4:5] offset:1472
	v_mul_lo_u16 v2, v48, 3
	s_delay_alu instid0(VALU_DEP_1) | instskip(NEXT) | instid1(VALU_DEP_1)
	v_and_b32_e32 v2, 0xffff, v2
	v_lshlrev_b32_e32 v2, 4, v2
	s_clause 0x6
	global_load_b128 v[38:41], v57, s[4:5] offset:1456
	global_load_b128 v[42:45], v2, s[4:5] offset:1440
	;; [unrolled: 1-line block ×7, first 2 shown]
	ds_load_2addr_stride64_b64 v[91:94], v29 offset0:36 offset1:40
	v_mul_u32_u24_e32 v2, 3, v0
	v_mul_lo_u16 v57, 0x180, v5
	s_delay_alu instid0(VALU_DEP_2) | instskip(NEXT) | instid1(VALU_DEP_2)
	v_lshlrev_b32_e32 v52, 4, v2
	v_or_b32_e32 v4, v57, v4
	s_delay_alu instid0(VALU_DEP_1) | instskip(NEXT) | instid1(VALU_DEP_1)
	v_and_b32_e32 v4, 0xffff, v4
	v_lshl_add_u32 v57, v4, 3, 0
	s_waitcnt vmcnt(8) lgkmcnt(0)
	v_mul_f64 v[10:11], v[91:92], v[32:33]
	v_mul_f64 v[32:33], v[18:19], v[32:33]
	s_waitcnt vmcnt(7)
	v_mul_f64 v[46:47], v[93:94], v[36:37]
	s_delay_alu instid0(VALU_DEP_3) | instskip(NEXT) | instid1(VALU_DEP_3)
	v_fma_f64 v[10:11], v[18:19], v[30:31], -v[10:11]
	v_fma_f64 v[30:31], v[91:92], v[30:31], v[32:33]
	v_mul_f64 v[32:33], v[20:21], v[36:37]
	ds_load_b64 v[91:92], v28
	v_fma_f64 v[36:37], v[20:21], v[34:35], -v[46:47]
	ds_load_2addr_stride64_b64 v[18:21], v29 offset0:20 offset1:24
	s_waitcnt vmcnt(6) lgkmcnt(0)
	v_mul_f64 v[46:47], v[20:21], v[40:41]
	v_fma_f64 v[32:33], v[93:94], v[34:35], v[32:33]
	v_mul_f64 v[34:35], v[16:17], v[40:41]
	s_waitcnt vmcnt(5)
	v_mul_f64 v[40:41], v[18:19], v[44:45]
	v_mul_f64 v[44:45], v[14:15], v[44:45]
	v_fma_f64 v[46:47], v[16:17], v[38:39], -v[46:47]
	s_delay_alu instid0(VALU_DEP_4) | instskip(NEXT) | instid1(VALU_DEP_4)
	v_fma_f64 v[34:35], v[20:21], v[38:39], v[34:35]
	v_fma_f64 v[40:41], v[14:15], v[42:43], -v[40:41]
	s_waitcnt vmcnt(4)
	v_mul_f64 v[20:21], v[91:92], v[73:74]
	v_fma_f64 v[42:43], v[18:19], v[42:43], v[44:45]
	v_mul_f64 v[18:19], v[99:100], v[73:74]
	ds_load_b64 v[38:39], v27
	ds_load_b64 v[93:94], v13
	ds_load_2addr_stride64_b64 v[14:17], v29 offset0:28 offset1:32
	ds_load_b64 v[103:104], v29 offset:22528
	s_waitcnt vmcnt(3) lgkmcnt(1)
	v_mul_f64 v[44:45], v[14:15], v[77:78]
	v_mul_f64 v[77:78], v[22:23], v[77:78]
	v_add_f64 v[46:47], v[6:7], -v[46:47]
	v_fma_f64 v[73:74], v[99:100], v[71:72], -v[20:21]
	v_fma_f64 v[71:72], v[91:92], v[71:72], v[18:19]
	s_waitcnt vmcnt(2)
	v_mul_f64 v[91:92], v[16:17], v[81:82]
	ds_load_2addr_stride64_b64 v[18:21], v29 offset1:16
	s_waitcnt vmcnt(0) lgkmcnt(0)
	s_barrier
	buffer_gl0_inv
	v_fma_f64 v[22:23], v[22:23], v[75:76], -v[44:45]
	v_fma_f64 v[14:15], v[14:15], v[75:76], v[77:78]
	v_mul_f64 v[44:45], v[103:104], v[85:86]
	v_mul_f64 v[75:76], v[20:21], v[89:90]
	;; [unrolled: 1-line block ×3, first 2 shown]
	v_add_f64 v[34:35], v[18:19], -v[34:35]
	v_fma_f64 v[6:7], v[6:7], 2.0, -v[46:47]
	v_add_f64 v[10:11], v[73:74], -v[10:11]
	v_add_f64 v[30:31], v[71:72], -v[30:31]
	v_fma_f64 v[77:78], v[24:25], v[79:80], -v[91:92]
	v_mul_f64 v[24:25], v[24:25], v[81:82]
	v_mul_f64 v[81:82], v[8:9], v[89:90]
	v_add_f64 v[14:15], v[93:94], -v[14:15]
	v_fma_f64 v[44:45], v[101:102], v[83:84], -v[44:45]
	v_fma_f64 v[8:9], v[8:9], v[87:88], -v[75:76]
	v_add_f64 v[75:76], v[95:96], -v[22:23]
	v_fma_f64 v[18:19], v[18:19], 2.0, -v[34:35]
	v_fma_f64 v[73:74], v[73:74], 2.0, -v[10:11]
	;; [unrolled: 1-line block ×3, first 2 shown]
	v_add_f64 v[30:31], v[46:47], -v[30:31]
	v_fma_f64 v[16:17], v[16:17], v[79:80], v[24:25]
	v_fma_f64 v[20:21], v[20:21], v[87:88], v[81:82]
	;; [unrolled: 1-line block ×3, first 2 shown]
	v_add_f64 v[83:84], v[34:35], v[10:11]
	v_fma_f64 v[81:82], v[93:94], 2.0, -v[14:15]
	v_add_f64 v[44:45], v[40:41], -v[44:45]
	v_add_f64 v[22:23], v[8:9], -v[36:37]
	;; [unrolled: 1-line block ×3, first 2 shown]
	v_fma_f64 v[77:78], v[95:96], 2.0, -v[75:76]
	v_add_nc_u32_e32 v95, 0x400, v57
	v_add_f64 v[73:74], v[6:7], -v[73:74]
	v_add_f64 v[71:72], v[18:19], -v[71:72]
	v_fma_f64 v[1:2], v[46:47], 2.0, -v[30:31]
	v_add_f64 v[16:17], v[38:39], -v[16:17]
	v_add_f64 v[32:33], v[20:21], -v[32:33]
	v_add_f64 v[24:25], v[42:43], -v[24:25]
	v_fma_f64 v[34:35], v[34:35], 2.0, -v[83:84]
	v_fma_f64 v[40:41], v[40:41], 2.0, -v[44:45]
	;; [unrolled: 1-line block ×4, first 2 shown]
	v_add_f64 v[85:86], v[14:15], v[22:23]
	v_dual_mov_b32 v23, 0 :: v_dual_add_nc_u32 v22, 0xffffff80, v0
	s_delay_alu instid0(VALU_DEP_1)
	v_cndmask_b32_e64 v59, v22, v51, s0
	v_fma_f64 v[5:6], v[6:7], 2.0, -v[73:74]
	v_mul_lo_u16 v7, 0x180, v12
	v_fma_f64 v[18:19], v[18:19], 2.0, -v[71:72]
	v_mul_u32_u24_e32 v12, 0x180, v55
	v_fma_f64 v[38:39], v[38:39], 2.0, -v[16:17]
	v_fma_f64 v[20:21], v[20:21], 2.0, -v[32:33]
	v_fma_f64 v[42:43], v[42:43], 2.0, -v[24:25]
	v_add_f64 v[32:33], v[75:76], -v[32:33]
	v_add_f64 v[24:25], v[36:37], -v[24:25]
	v_add_f64 v[44:45], v[16:17], v[44:45]
	v_or_b32_e32 v7, v7, v48
	v_or_b32_e32 v3, v12, v3
	v_add_co_u32 v48, s0, s4, v52
	s_delay_alu instid0(VALU_DEP_1) | instskip(NEXT) | instid1(VALU_DEP_4)
	v_add_co_ci_u32_e64 v52, null, s5, 0, s0
	v_and_b32_e32 v7, 0xffff, v7
	s_delay_alu instid0(VALU_DEP_4) | instskip(NEXT) | instid1(VALU_DEP_4)
	v_lshl_add_u32 v55, v3, 3, 0
	v_add_co_u32 v87, s0, 0x17a0, v48
	s_delay_alu instid0(VALU_DEP_1) | instskip(NEXT) | instid1(VALU_DEP_4)
	v_add_co_ci_u32_e64 v88, s0, 0, v52, s0
	v_lshl_add_u32 v89, v7, 3, 0
	s_delay_alu instid0(VALU_DEP_4)
	v_add_nc_u32_e32 v90, 0x400, v55
	v_mul_i32_i24_e32 v22, 3, v59
	v_add_f64 v[8:9], v[77:78], -v[8:9]
	v_add_f64 v[40:41], v[79:80], -v[40:41]
	v_add_nc_u32_e32 v96, 0x400, v89
	v_add_f64 v[20:21], v[81:82], -v[20:21]
	v_add_f64 v[42:43], v[38:39], -v[42:43]
	v_fma_f64 v[10:11], v[75:76], 2.0, -v[32:33]
	v_fma_f64 v[36:37], v[36:37], 2.0, -v[24:25]
	;; [unrolled: 1-line block ×5, first 2 shown]
	ds_store_2addr_b64 v90, v[73:74], v[30:31] offset0:64 offset1:160
	ds_store_2addr_b64 v55, v[5:6], v[1:2] offset1:96
	ds_store_2addr_b64 v57, v[46:47], v[10:11] offset1:96
	ds_store_2addr_b64 v95, v[8:9], v[32:33] offset0:64 offset1:160
	ds_store_2addr_b64 v89, v[75:76], v[36:37] offset1:96
	ds_store_2addr_b64 v96, v[40:41], v[24:25] offset0:64 offset1:160
	v_fma_f64 v[79:80], v[81:82], 2.0, -v[20:21]
	v_fma_f64 v[81:82], v[16:17], 2.0, -v[44:45]
	;; [unrolled: 1-line block ×3, first 2 shown]
	s_waitcnt lgkmcnt(0)
	s_barrier
	buffer_gl0_inv
	ds_load_2addr_stride64_b64 v[1:4], v29 offset1:16
	ds_load_2addr_stride64_b64 v[5:8], v29 offset0:20 offset1:24
	ds_load_2addr_stride64_b64 v[9:12], v29 offset0:36 offset1:40
	;; [unrolled: 1-line block ×3, first 2 shown]
	ds_load_b64 v[24:25], v13
	ds_load_b64 v[46:47], v27
	;; [unrolled: 1-line block ×3, first 2 shown]
	ds_load_b64 v[93:94], v29 offset:22528
	s_waitcnt lgkmcnt(0)
	s_barrier
	buffer_gl0_inv
	ds_store_2addr_b64 v55, v[18:19], v[34:35] offset1:96
	ds_store_2addr_b64 v90, v[71:72], v[83:84] offset0:64 offset1:160
	ds_store_2addr_b64 v57, v[79:80], v[77:78] offset1:96
	ds_store_2addr_b64 v95, v[20:21], v[85:86] offset0:64 offset1:160
	;; [unrolled: 2-line block ×3, first 2 shown]
	s_waitcnt lgkmcnt(0)
	s_barrier
	buffer_gl0_inv
	global_load_b128 v[18:21], v[87:88], off offset:32
	v_lshlrev_b64 v[30:31], 4, v[22:23]
	s_delay_alu instid0(VALU_DEP_1) | instskip(NEXT) | instid1(VALU_DEP_1)
	v_add_co_u32 v22, s0, s4, v30
	v_add_co_ci_u32_e64 v55, s0, s5, v31, s0
	s_delay_alu instid0(VALU_DEP_2) | instskip(NEXT) | instid1(VALU_DEP_1)
	v_add_co_u32 v71, s0, 0x17a0, v22
	v_add_co_ci_u32_e64 v72, s0, 0, v55, s0
	v_add_co_u32 v38, s0, 0x2000, v48
	s_delay_alu instid0(VALU_DEP_1)
	v_add_co_ci_u32_e64 v39, s0, 0, v52, s0
	s_clause 0x2
	global_load_b128 v[30:33], v[71:72], off offset:32
	global_load_b128 v[34:37], v[87:88], off offset:16
	;; [unrolled: 1-line block ×3, first 2 shown]
	v_add_co_u32 v42, s0, 0x1000, v48
	s_delay_alu instid0(VALU_DEP_1) | instskip(SKIP_1) | instid1(VALU_DEP_1)
	v_add_co_ci_u32_e64 v43, s0, 0, v52, s0
	v_add_co_u32 v79, s0, 0x2fa0, v48
	v_add_co_ci_u32_e64 v80, s0, 0, v52, s0
	s_clause 0x3
	global_load_b128 v[42:45], v[42:43], off offset:1952
	global_load_b128 v[71:74], v[71:72], off offset:16
	;; [unrolled: 1-line block ×4, first 2 shown]
	v_add_co_u32 v83, s0, 0x1000, v22
	s_delay_alu instid0(VALU_DEP_1)
	v_add_co_ci_u32_e64 v84, s0, 0, v55, s0
	ds_load_2addr_stride64_b64 v[87:90], v29 offset0:36 offset1:40
	v_cmp_lt_u32_e64 s0, 0x17f, v51
	v_lshl_add_u32 v48, v0, 3, 0
	global_load_b128 v[83:86], v[83:84], off offset:1952
	v_cndmask_b32_e64 v22, 0, 0x600, s0
	s_delay_alu instid0(VALU_DEP_1) | instskip(NEXT) | instid1(VALU_DEP_1)
	v_or_b32_e32 v22, v22, v59
	v_lshl_add_u32 v52, v22, 3, 0
	s_waitcnt vmcnt(8) lgkmcnt(0)
	v_mul_f64 v[95:96], v[87:88], v[20:21]
	v_mul_f64 v[20:21], v[9:10], v[20:21]
	s_waitcnt vmcnt(7)
	v_mul_f64 v[97:98], v[89:90], v[32:33]
	v_mul_f64 v[32:33], v[11:12], v[32:33]
	s_delay_alu instid0(VALU_DEP_4) | instskip(NEXT) | instid1(VALU_DEP_4)
	v_fma_f64 v[95:96], v[9:10], v[18:19], -v[95:96]
	v_fma_f64 v[87:88], v[87:88], v[18:19], v[20:21]
	ds_load_2addr_stride64_b64 v[18:21], v29 offset0:20 offset1:24
	v_fma_f64 v[97:98], v[11:12], v[30:31], -v[97:98]
	s_waitcnt vmcnt(6)
	v_mul_f64 v[11:12], v[7:8], v[36:37]
	s_waitcnt lgkmcnt(0)
	v_mul_f64 v[9:10], v[20:21], v[36:37]
	v_fma_f64 v[30:31], v[89:90], v[30:31], v[32:33]
	s_waitcnt vmcnt(5)
	v_mul_f64 v[32:33], v[18:19], v[40:41]
	v_mul_f64 v[36:37], v[5:6], v[40:41]
	ds_load_b64 v[40:41], v28
	ds_load_b64 v[89:90], v27
	s_waitcnt vmcnt(4) lgkmcnt(1)
	v_mul_f64 v[101:102], v[40:41], v[44:45]
	v_mul_f64 v[44:45], v[91:92], v[44:45]
	v_fma_f64 v[20:21], v[20:21], v[34:35], v[11:12]
	v_fma_f64 v[99:100], v[7:8], v[34:35], -v[9:10]
	ds_load_b64 v[34:35], v29 offset:22528
	v_fma_f64 v[32:33], v[5:6], v[38:39], -v[32:33]
	ds_load_2addr_stride64_b64 v[5:8], v29 offset0:28 offset1:32
	ds_load_2addr_stride64_b64 v[9:12], v29 offset1:16
	v_fma_f64 v[18:19], v[18:19], v[38:39], v[36:37]
	s_waitcnt vmcnt(3) lgkmcnt(1)
	v_mul_f64 v[36:37], v[5:6], v[73:74]
	v_fma_f64 v[38:39], v[91:92], v[42:43], -v[101:102]
	s_waitcnt vmcnt(2)
	v_mul_f64 v[91:92], v[7:8], v[77:78]
	v_fma_f64 v[40:41], v[40:41], v[42:43], v[44:45]
	s_waitcnt vmcnt(0) lgkmcnt(0)
	v_mul_f64 v[44:45], v[11:12], v[85:86]
	v_mul_f64 v[42:43], v[34:35], v[81:82]
	v_mul_f64 v[73:74], v[14:15], v[73:74]
	v_mul_f64 v[81:82], v[93:94], v[81:82]
	v_add_f64 v[20:21], v[9:10], -v[20:21]
	v_fma_f64 v[14:15], v[14:15], v[71:72], -v[36:37]
	v_fma_f64 v[36:37], v[16:17], v[75:76], -v[91:92]
	v_mul_f64 v[16:17], v[16:17], v[77:78]
	v_mul_f64 v[77:78], v[3:4], v[85:86]
	v_fma_f64 v[3:4], v[3:4], v[83:84], -v[44:45]
	v_fma_f64 v[42:43], v[93:94], v[79:80], -v[42:43]
	v_fma_f64 v[5:6], v[5:6], v[71:72], v[73:74]
	v_add_f64 v[44:45], v[38:39], -v[95:96]
	ds_load_b64 v[73:74], v13
	s_waitcnt lgkmcnt(0)
	s_barrier
	buffer_gl0_inv
	v_fma_f64 v[9:10], v[9:10], 2.0, -v[20:21]
	v_add_f64 v[14:15], v[24:25], -v[14:15]
	v_add_f64 v[36:37], v[46:47], -v[36:37]
	v_fma_f64 v[7:8], v[7:8], v[75:76], v[16:17]
	v_fma_f64 v[11:12], v[11:12], v[83:84], v[77:78]
	;; [unrolled: 1-line block ×3, first 2 shown]
	v_add_f64 v[34:35], v[1:2], -v[99:100]
	v_add_f64 v[71:72], v[3:4], -v[97:98]
	;; [unrolled: 1-line block ×5, first 2 shown]
	v_fma_f64 v[38:39], v[38:39], 2.0, -v[44:45]
	v_add_f64 v[44:45], v[20:21], v[44:45]
	v_fma_f64 v[24:25], v[24:25], 2.0, -v[14:15]
	v_fma_f64 v[46:47], v[46:47], 2.0, -v[36:37]
	v_add_f64 v[7:8], v[89:90], -v[7:8]
	v_add_f64 v[30:31], v[11:12], -v[30:31]
	;; [unrolled: 1-line block ×3, first 2 shown]
	v_fma_f64 v[1:2], v[1:2], 2.0, -v[34:35]
	v_fma_f64 v[3:4], v[3:4], 2.0, -v[71:72]
	;; [unrolled: 1-line block ×5, first 2 shown]
	v_add_f64 v[75:76], v[34:35], -v[75:76]
	v_add_f64 v[71:72], v[5:6], v[71:72]
	v_fma_f64 v[77:78], v[89:90], 2.0, -v[7:8]
	v_fma_f64 v[11:12], v[11:12], 2.0, -v[30:31]
	;; [unrolled: 1-line block ×3, first 2 shown]
	v_add_f64 v[38:39], v[1:2], -v[38:39]
	v_add_f64 v[79:80], v[14:15], -v[30:31]
	;; [unrolled: 1-line block ×6, first 2 shown]
	v_add_f64 v[42:43], v[7:8], v[42:43]
	v_fma_f64 v[85:86], v[5:6], 2.0, -v[71:72]
	v_lshl_add_u32 v31, v53, 3, 0
	v_lshl_add_u32 v30, v58, 3, 0
	v_add_f64 v[81:82], v[73:74], -v[11:12]
	v_add_f64 v[83:84], v[77:78], -v[18:19]
	v_fma_f64 v[11:12], v[34:35], 2.0, -v[75:76]
	v_fma_f64 v[1:2], v[1:2], 2.0, -v[38:39]
	;; [unrolled: 1-line block ×9, first 2 shown]
	ds_store_2addr_stride64_b64 v29, v[38:39], v[75:76] offset0:12 offset1:18
	ds_store_2addr_stride64_b64 v29, v[1:2], v[11:12] offset1:6
	ds_store_2addr_stride64_b64 v52, v[18:19], v[14:15] offset1:6
	ds_store_2addr_stride64_b64 v52, v[3:4], v[79:80] offset0:12 offset1:18
	ds_store_b64 v29, v[24:25] offset:13312
	ds_store_2addr_stride64_b64 v48, v[34:35], v[32:33] offset0:32 offset1:38
	ds_store_b64 v48, v[16:17] offset:22528
	v_fma_f64 v[73:74], v[73:74], 2.0, -v[81:82]
	v_fma_f64 v[77:78], v[77:78], 2.0, -v[83:84]
	s_waitcnt lgkmcnt(0)
	s_barrier
	buffer_gl0_inv
	ds_load_2addr_stride64_b64 v[1:4], v29 offset1:24
	ds_load_2addr_stride64_b64 v[5:8], v29 offset0:28 offset1:32
	ds_load_2addr_stride64_b64 v[9:12], v29 offset0:36 offset1:40
	ds_load_b64 v[17:18], v13
	ds_load_b64 v[13:14], v31
	;; [unrolled: 1-line block ×5, first 2 shown]
	ds_load_b64 v[24:25], v29 offset:22528
	s_waitcnt lgkmcnt(0)
	s_barrier
	buffer_gl0_inv
	ds_store_2addr_stride64_b64 v29, v[46:47], v[36:37] offset1:6
	ds_store_2addr_stride64_b64 v29, v[40:41], v[44:45] offset0:12 offset1:18
	ds_store_2addr_stride64_b64 v52, v[73:74], v[85:86] offset1:6
	ds_store_2addr_stride64_b64 v52, v[81:82], v[71:72] offset0:12 offset1:18
	ds_store_b64 v29, v[77:78] offset:13312
	ds_store_2addr_stride64_b64 v48, v[87:88], v[83:84] offset0:32 offset1:38
	ds_store_b64 v48, v[42:43] offset:22528
	s_waitcnt lgkmcnt(0)
	s_barrier
	buffer_gl0_inv
	s_and_saveexec_b32 s0, vcc_lo
	s_cbranch_execz .LBB0_15
; %bb.14:
	v_dual_mov_b32 v59, v23 :: v_dual_lshlrev_b32 v46, 4, v0
	v_mad_u64_u32 v[91:92], null, s8, v69, 0
	v_mov_b32_e32 v57, v23
	s_delay_alu instid0(VALU_DEP_3) | instskip(SKIP_2) | instid1(VALU_DEP_4)
	v_lshlrev_b64 v[32:33], 4, v[58:59]
	v_mad_u64_u32 v[95:96], null, s8, v70, 0
	v_mov_b32_e32 v55, v23
	v_lshlrev_b64 v[34:35], 4, v[56:57]
	v_mov_b32_e32 v52, v23
	v_add_co_u32 v32, vcc_lo, s4, v32
	v_add_co_ci_u32_e32 v33, vcc_lo, s5, v33, vcc_lo
	s_delay_alu instid0(VALU_DEP_4) | instskip(SKIP_1) | instid1(VALU_DEP_4)
	v_add_co_u32 v34, vcc_lo, s4, v34
	v_add_co_ci_u32_e32 v35, vcc_lo, s5, v35, vcc_lo
	v_add_co_u32 v32, vcc_lo, 0x5000, v32
	v_lshlrev_b64 v[40:41], 4, v[54:55]
	v_add_co_ci_u32_e32 v33, vcc_lo, 0, v33, vcc_lo
	v_add_co_u32 v36, vcc_lo, 0x5000, v34
	v_add_co_ci_u32_e32 v37, vcc_lo, 0, v35, vcc_lo
	s_delay_alu instid0(VALU_DEP_4)
	v_add_co_u32 v42, vcc_lo, s4, v40
	v_add_co_ci_u32_e32 v43, vcc_lo, s5, v41, vcc_lo
	v_lshlrev_b64 v[40:41], 4, v[51:52]
	s_clause 0x1
	global_load_b128 v[32:35], v[32:33], off offset:4000
	global_load_b128 v[36:39], v[36:37], off offset:4000
	v_add_co_u32 v42, vcc_lo, 0x5000, v42
	v_add_co_ci_u32_e32 v43, vcc_lo, 0, v43, vcc_lo
	v_add_co_u32 v44, vcc_lo, s4, v40
	v_add_co_ci_u32_e32 v45, vcc_lo, s5, v41, vcc_lo
	v_add_co_u32 v48, s0, s4, v46
	s_delay_alu instid0(VALU_DEP_3) | instskip(SKIP_1) | instid1(VALU_DEP_4)
	v_add_co_u32 v44, vcc_lo, 0x5000, v44
	v_add_co_ci_u32_e64 v52, null, s5, 0, s0
	v_add_co_ci_u32_e32 v45, vcc_lo, 0, v45, vcc_lo
	s_delay_alu instid0(VALU_DEP_4) | instskip(NEXT) | instid1(VALU_DEP_3)
	v_add_co_u32 v55, vcc_lo, 0x5000, v48
	v_add_co_ci_u32_e32 v56, vcc_lo, 0, v52, vcc_lo
	s_clause 0x1
	global_load_b128 v[40:43], v[42:43], off offset:4000
	global_load_b128 v[44:47], v[44:45], off offset:4000
	v_mad_u64_u32 v[89:90], null, s8, v0, 0
	global_load_b128 v[55:58], v[55:56], off offset:4000
	v_mov_b32_e32 v54, v23
	v_mad_u64_u32 v[93:94], null, s8, v64, 0
	v_mad_u64_u32 v[97:98], null, s8, v63, 0
	s_delay_alu instid0(VALU_DEP_3) | instskip(SKIP_3) | instid1(VALU_DEP_4)
	v_lshlrev_b64 v[52:53], 4, v[53:54]
	v_mad_u64_u32 v[101:102], null, s8, v67, 0
	v_mad_u64_u32 v[107:108], null, s8, v68, 0
	;; [unrolled: 1-line block ×3, first 2 shown]
	v_add_co_u32 v23, vcc_lo, s4, v52
	v_add_co_ci_u32_e32 v48, vcc_lo, s5, v53, vcc_lo
	v_mad_u64_u32 v[113:114], null, s8, v60, 0
	s_delay_alu instid0(VALU_DEP_3) | instskip(NEXT) | instid1(VALU_DEP_3)
	v_add_co_u32 v52, vcc_lo, 0x5000, v23
	v_add_co_ci_u32_e32 v53, vcc_lo, 0, v48, vcc_lo
	v_mul_i32_i24_e32 v23, 0xffffffd8, v51
	v_mad_u64_u32 v[105:106], null, s8, v61, 0
	global_load_b128 v[71:74], v[52:53], off offset:4000
	ds_load_2addr_stride64_b64 v[75:78], v29 offset0:36 offset1:40
	ds_load_2addr_stride64_b64 v[79:82], v29 offset0:28 offset1:32
	ds_load_b64 v[111:112], v29 offset:22528
	v_dual_mov_b32 v26, v92 :: v_dual_add_nc_u32 v59, v26, v23
	v_mov_b32_e32 v23, v90
	v_mad_u64_u32 v[117:118], null, s8, v62, 0
	v_add_co_u32 v119, vcc_lo, s10, v49
	v_add_co_ci_u32_e32 v120, vcc_lo, s11, v50, vcc_lo
	s_delay_alu instid0(VALU_DEP_4) | instskip(NEXT) | instid1(VALU_DEP_4)
	v_mad_u64_u32 v[49:50], null, s9, v0, v[23:24]
	v_mov_b32_e32 v0, v118
	v_mov_b32_e32 v48, v116
	s_delay_alu instid0(VALU_DEP_3)
	v_mov_b32_e32 v90, v49
	s_waitcnt vmcnt(5) lgkmcnt(2)
	v_mul_f64 v[52:53], v[32:33], v[77:78]
	v_mul_f64 v[83:84], v[34:35], v[77:78]
	s_waitcnt vmcnt(4)
	v_mul_f64 v[85:86], v[36:37], v[75:76]
	v_mul_f64 v[87:88], v[38:39], v[75:76]
	ds_load_2addr_stride64_b64 v[75:78], v29 offset1:24
	s_waitcnt vmcnt(3) lgkmcnt(2)
	v_mul_f64 v[99:100], v[40:41], v[81:82]
	v_mul_f64 v[81:82], v[42:43], v[81:82]
	s_waitcnt vmcnt(2)
	v_mul_f64 v[103:104], v[44:45], v[79:80]
	v_mul_f64 v[79:80], v[46:47], v[79:80]
	s_waitcnt vmcnt(1) lgkmcnt(0)
	v_mul_f64 v[109:110], v[55:56], v[77:78]
	v_mul_f64 v[77:78], v[57:58], v[77:78]
	v_fma_f64 v[34:35], v[11:12], v[34:35], v[52:53]
	ds_load_b64 v[53:54], v31
	v_fma_f64 v[11:12], v[11:12], v[32:33], -v[83:84]
	v_fma_f64 v[31:32], v[9:10], v[38:39], v[85:86]
	v_fma_f64 v[36:37], v[9:10], v[36:37], -v[87:88]
	ds_load_b64 v[83:84], v28
	ds_load_b64 v[85:86], v27
	ds_load_b64 v[87:88], v30
	v_mad_u64_u32 v[51:52], null, s8, v66, 0
	v_mov_b32_e32 v33, v106
	s_waitcnt vmcnt(0)
	v_mul_f64 v[27:28], v[73:74], v[111:112]
	v_mul_f64 v[9:10], v[71:72], v[111:112]
	v_fma_f64 v[29:30], v[7:8], v[42:43], v[99:100]
	v_fma_f64 v[38:39], v[7:8], v[40:41], -v[81:82]
	v_fma_f64 v[40:41], v[5:6], v[46:47], v[103:104]
	v_fma_f64 v[42:43], v[5:6], v[44:45], -v[79:80]
	v_fma_f64 v[45:46], v[3:4], v[57:58], v[109:110]
	v_dual_mov_b32 v7, v94 :: v_dual_mov_b32 v44, v108
	v_mov_b32_e32 v8, v96
	v_fma_f64 v[3:4], v[3:4], v[55:56], -v[77:78]
	v_mov_b32_e32 v5, v98
	v_mov_b32_e32 v6, v102
	v_mad_u64_u32 v[55:56], null, s9, v69, v[26:27]
	v_mad_u64_u32 v[56:57], null, s9, v64, v[7:8]
	v_mov_b32_e32 v7, v52
	v_mad_u64_u32 v[57:58], null, s9, v70, v[8:9]
	v_mad_u64_u32 v[69:70], null, s9, v63, v[5:6]
	s_delay_alu instid0(VALU_DEP_3)
	v_mad_u64_u32 v[63:64], null, s9, v67, v[6:7]
	v_fma_f64 v[70:71], v[24:25], v[71:72], -v[27:28]
	v_mad_u64_u32 v[77:78], null, s9, v68, v[44:45]
	v_fma_f64 v[67:68], v[24:25], v[73:74], v[9:10]
	ds_load_b64 v[58:59], v59
	v_dual_mov_b32 v47, v114 :: v_dual_mov_b32 v92, v55
	v_mad_u64_u32 v[5:6], null, s9, v61, v[33:34]
	v_mad_u64_u32 v[23:24], null, s9, v62, v[0:1]
	s_delay_alu instid0(VALU_DEP_3) | instskip(SKIP_1) | instid1(VALU_DEP_4)
	v_mad_u64_u32 v[8:9], null, s9, v60, v[47:48]
	v_mad_u64_u32 v[9:10], null, s9, v65, v[48:49]
	v_mov_b32_e32 v106, v5
	v_add_f64 v[5:6], v[75:76], -v[45:46]
	v_add_f64 v[3:4], v[1:2], -v[3:4]
	v_mov_b32_e32 v118, v23
	v_mad_u64_u32 v[24:25], null, s9, v66, v[7:8]
	v_mov_b32_e32 v114, v8
	v_mov_b32_e32 v116, v9
	v_add_f64 v[7:8], v[17:18], -v[42:43]
	s_waitcnt lgkmcnt(0)
	v_add_f64 v[9:10], v[58:59], -v[40:41]
	v_add_f64 v[25:26], v[85:86], -v[29:30]
	;; [unrolled: 1-line block ×3, first 2 shown]
	v_mov_b32_e32 v52, v24
	v_add_f64 v[23:24], v[21:22], -v[38:39]
	v_add_f64 v[27:28], v[19:20], -v[36:37]
	;; [unrolled: 1-line block ×4, first 2 shown]
	v_lshlrev_b64 v[47:48], 4, v[89:90]
	v_lshlrev_b64 v[49:50], 4, v[91:92]
	v_mov_b32_e32 v94, v56
	v_mov_b32_e32 v96, v57
	;; [unrolled: 1-line block ×4, first 2 shown]
	v_add_f64 v[35:36], v[13:14], -v[70:71]
	v_add_co_u32 v79, vcc_lo, v119, v47
	v_add_f64 v[37:38], v[53:54], -v[67:68]
	v_add_co_ci_u32_e32 v80, vcc_lo, v120, v48, vcc_lo
	v_add_co_u32 v81, vcc_lo, v119, v49
	v_lshlrev_b64 v[55:56], 4, v[93:94]
	v_add_co_ci_u32_e32 v82, vcc_lo, v120, v50, vcc_lo
	v_lshlrev_b64 v[60:61], 4, v[95:96]
	v_lshlrev_b64 v[62:63], 4, v[97:98]
	v_mov_b32_e32 v108, v77
	v_add_co_u32 v55, vcc_lo, v119, v55
	v_fma_f64 v[41:42], v[75:76], 2.0, -v[5:6]
	v_fma_f64 v[39:40], v[1:2], 2.0, -v[3:4]
	v_lshlrev_b64 v[77:78], 4, v[51:52]
	v_add_co_ci_u32_e32 v56, vcc_lo, v120, v56, vcc_lo
	v_lshlrev_b64 v[64:65], 4, v[101:102]
	v_add_co_u32 v60, vcc_lo, v119, v60
	v_fma_f64 v[45:46], v[58:59], 2.0, -v[9:10]
	v_fma_f64 v[43:44], v[17:18], 2.0, -v[7:8]
	;; [unrolled: 1-line block ×3, first 2 shown]
	v_add_co_ci_u32_e32 v61, vcc_lo, v120, v61, vcc_lo
	v_fma_f64 v[47:48], v[21:22], 2.0, -v[23:24]
	v_fma_f64 v[21:22], v[83:84], 2.0, -v[29:30]
	;; [unrolled: 1-line block ×5, first 2 shown]
	v_lshlrev_b64 v[11:12], 4, v[105:106]
	v_add_co_u32 v62, vcc_lo, v119, v62
	v_add_co_ci_u32_e32 v63, vcc_lo, v120, v63, vcc_lo
	v_fma_f64 v[51:52], v[13:14], 2.0, -v[35:36]
	v_lshlrev_b64 v[66:67], 4, v[107:108]
	v_fma_f64 v[53:54], v[53:54], 2.0, -v[37:38]
	v_add_co_u32 v0, vcc_lo, v119, v64
	v_add_co_ci_u32_e32 v1, vcc_lo, v120, v65, vcc_lo
	v_lshlrev_b64 v[68:69], 4, v[113:114]
	v_add_co_u32 v11, vcc_lo, v119, v11
	v_add_co_ci_u32_e32 v12, vcc_lo, v120, v12, vcc_lo
	v_lshlrev_b64 v[70:71], 4, v[115:116]
	;; [unrolled: 3-line block ×3, first 2 shown]
	v_add_co_u32 v57, vcc_lo, v119, v68
	v_add_co_ci_u32_e32 v58, vcc_lo, v120, v69, vcc_lo
	v_add_co_u32 v64, vcc_lo, v119, v70
	v_add_co_ci_u32_e32 v65, vcc_lo, v120, v71, vcc_lo
	;; [unrolled: 2-line block ×4, first 2 shown]
	s_clause 0xb
	global_store_b128 v[79:80], v[39:42], off
	global_store_b128 v[81:82], v[3:6], off
	;; [unrolled: 1-line block ×12, first 2 shown]
.LBB0_15:
	s_nop 0
	s_sendmsg sendmsg(MSG_DEALLOC_VGPRS)
	s_endpgm
	.section	.rodata,"a",@progbits
	.p2align	6, 0x0
	.amdhsa_kernel fft_rtc_fwd_len3072_factors_6_4_4_4_4_2_wgs_256_tpt_256_halfLds_dp_ip_CI_sbrr_dirReg
		.amdhsa_group_segment_fixed_size 0
		.amdhsa_private_segment_fixed_size 0
		.amdhsa_kernarg_size 88
		.amdhsa_user_sgpr_count 15
		.amdhsa_user_sgpr_dispatch_ptr 0
		.amdhsa_user_sgpr_queue_ptr 0
		.amdhsa_user_sgpr_kernarg_segment_ptr 1
		.amdhsa_user_sgpr_dispatch_id 0
		.amdhsa_user_sgpr_private_segment_size 0
		.amdhsa_wavefront_size32 1
		.amdhsa_uses_dynamic_stack 0
		.amdhsa_enable_private_segment 0
		.amdhsa_system_sgpr_workgroup_id_x 1
		.amdhsa_system_sgpr_workgroup_id_y 0
		.amdhsa_system_sgpr_workgroup_id_z 0
		.amdhsa_system_sgpr_workgroup_info 0
		.amdhsa_system_vgpr_workitem_id 0
		.amdhsa_next_free_vgpr 121
		.amdhsa_next_free_sgpr 23
		.amdhsa_reserve_vcc 1
		.amdhsa_float_round_mode_32 0
		.amdhsa_float_round_mode_16_64 0
		.amdhsa_float_denorm_mode_32 3
		.amdhsa_float_denorm_mode_16_64 3
		.amdhsa_dx10_clamp 1
		.amdhsa_ieee_mode 1
		.amdhsa_fp16_overflow 0
		.amdhsa_workgroup_processor_mode 1
		.amdhsa_memory_ordered 1
		.amdhsa_forward_progress 0
		.amdhsa_shared_vgpr_count 0
		.amdhsa_exception_fp_ieee_invalid_op 0
		.amdhsa_exception_fp_denorm_src 0
		.amdhsa_exception_fp_ieee_div_zero 0
		.amdhsa_exception_fp_ieee_overflow 0
		.amdhsa_exception_fp_ieee_underflow 0
		.amdhsa_exception_fp_ieee_inexact 0
		.amdhsa_exception_int_div_zero 0
	.end_amdhsa_kernel
	.text
.Lfunc_end0:
	.size	fft_rtc_fwd_len3072_factors_6_4_4_4_4_2_wgs_256_tpt_256_halfLds_dp_ip_CI_sbrr_dirReg, .Lfunc_end0-fft_rtc_fwd_len3072_factors_6_4_4_4_4_2_wgs_256_tpt_256_halfLds_dp_ip_CI_sbrr_dirReg
                                        ; -- End function
	.section	.AMDGPU.csdata,"",@progbits
; Kernel info:
; codeLenInByte = 10256
; NumSgprs: 25
; NumVgprs: 121
; ScratchSize: 0
; MemoryBound: 1
; FloatMode: 240
; IeeeMode: 1
; LDSByteSize: 0 bytes/workgroup (compile time only)
; SGPRBlocks: 3
; VGPRBlocks: 15
; NumSGPRsForWavesPerEU: 25
; NumVGPRsForWavesPerEU: 121
; Occupancy: 10
; WaveLimiterHint : 1
; COMPUTE_PGM_RSRC2:SCRATCH_EN: 0
; COMPUTE_PGM_RSRC2:USER_SGPR: 15
; COMPUTE_PGM_RSRC2:TRAP_HANDLER: 0
; COMPUTE_PGM_RSRC2:TGID_X_EN: 1
; COMPUTE_PGM_RSRC2:TGID_Y_EN: 0
; COMPUTE_PGM_RSRC2:TGID_Z_EN: 0
; COMPUTE_PGM_RSRC2:TIDIG_COMP_CNT: 0
	.text
	.p2alignl 7, 3214868480
	.fill 96, 4, 3214868480
	.type	__hip_cuid_e21fcd216960024b,@object ; @__hip_cuid_e21fcd216960024b
	.section	.bss,"aw",@nobits
	.globl	__hip_cuid_e21fcd216960024b
__hip_cuid_e21fcd216960024b:
	.byte	0                               ; 0x0
	.size	__hip_cuid_e21fcd216960024b, 1

	.ident	"AMD clang version 19.0.0git (https://github.com/RadeonOpenCompute/llvm-project roc-6.4.0 25133 c7fe45cf4b819c5991fe208aaa96edf142730f1d)"
	.section	".note.GNU-stack","",@progbits
	.addrsig
	.addrsig_sym __hip_cuid_e21fcd216960024b
	.amdgpu_metadata
---
amdhsa.kernels:
  - .args:
      - .actual_access:  read_only
        .address_space:  global
        .offset:         0
        .size:           8
        .value_kind:     global_buffer
      - .offset:         8
        .size:           8
        .value_kind:     by_value
      - .actual_access:  read_only
        .address_space:  global
        .offset:         16
        .size:           8
        .value_kind:     global_buffer
      - .actual_access:  read_only
        .address_space:  global
        .offset:         24
        .size:           8
        .value_kind:     global_buffer
      - .offset:         32
        .size:           8
        .value_kind:     by_value
      - .actual_access:  read_only
        .address_space:  global
        .offset:         40
        .size:           8
        .value_kind:     global_buffer
      - .actual_access:  read_only
        .address_space:  global
        .offset:         48
        .size:           8
        .value_kind:     global_buffer
      - .offset:         56
        .size:           4
        .value_kind:     by_value
      - .actual_access:  read_only
        .address_space:  global
        .offset:         64
        .size:           8
        .value_kind:     global_buffer
      - .actual_access:  read_only
        .address_space:  global
        .offset:         72
        .size:           8
        .value_kind:     global_buffer
      - .address_space:  global
        .offset:         80
        .size:           8
        .value_kind:     global_buffer
    .group_segment_fixed_size: 0
    .kernarg_segment_align: 8
    .kernarg_segment_size: 88
    .language:       OpenCL C
    .language_version:
      - 2
      - 0
    .max_flat_workgroup_size: 256
    .name:           fft_rtc_fwd_len3072_factors_6_4_4_4_4_2_wgs_256_tpt_256_halfLds_dp_ip_CI_sbrr_dirReg
    .private_segment_fixed_size: 0
    .sgpr_count:     25
    .sgpr_spill_count: 0
    .symbol:         fft_rtc_fwd_len3072_factors_6_4_4_4_4_2_wgs_256_tpt_256_halfLds_dp_ip_CI_sbrr_dirReg.kd
    .uniform_work_group_size: 1
    .uses_dynamic_stack: false
    .vgpr_count:     121
    .vgpr_spill_count: 0
    .wavefront_size: 32
    .workgroup_processor_mode: 1
amdhsa.target:   amdgcn-amd-amdhsa--gfx1100
amdhsa.version:
  - 1
  - 2
...

	.end_amdgpu_metadata
